;; amdgpu-corpus repo=ROCm/rocFFT kind=compiled arch=gfx1030 opt=O3
	.text
	.amdgcn_target "amdgcn-amd-amdhsa--gfx1030"
	.amdhsa_code_object_version 6
	.protected	fft_rtc_fwd_len338_factors_13_2_13_wgs_52_tpt_26_halfLds_dp_op_CI_CI_unitstride_sbrr_R2C_dirReg ; -- Begin function fft_rtc_fwd_len338_factors_13_2_13_wgs_52_tpt_26_halfLds_dp_op_CI_CI_unitstride_sbrr_R2C_dirReg
	.globl	fft_rtc_fwd_len338_factors_13_2_13_wgs_52_tpt_26_halfLds_dp_op_CI_CI_unitstride_sbrr_R2C_dirReg
	.p2align	8
	.type	fft_rtc_fwd_len338_factors_13_2_13_wgs_52_tpt_26_halfLds_dp_op_CI_CI_unitstride_sbrr_R2C_dirReg,@function
fft_rtc_fwd_len338_factors_13_2_13_wgs_52_tpt_26_halfLds_dp_op_CI_CI_unitstride_sbrr_R2C_dirReg: ; @fft_rtc_fwd_len338_factors_13_2_13_wgs_52_tpt_26_halfLds_dp_op_CI_CI_unitstride_sbrr_R2C_dirReg
; %bb.0:
	s_clause 0x2
	s_load_dwordx4 s[12:15], s[4:5], 0x0
	s_load_dwordx4 s[8:11], s[4:5], 0x58
	;; [unrolled: 1-line block ×3, first 2 shown]
	v_mul_u32_u24_e32 v1, 0x9d9, v0
	v_mov_b32_e32 v3, 0
	v_lshrrev_b32_e32 v7, 16, v1
	v_mov_b32_e32 v1, 0
	v_mov_b32_e32 v6, v3
	v_mov_b32_e32 v2, 0
	v_lshl_add_u32 v5, s6, 1, v7
	s_waitcnt lgkmcnt(0)
	v_cmp_lt_u64_e64 s0, s[14:15], 2
	s_and_b32 vcc_lo, exec_lo, s0
	s_cbranch_vccnz .LBB0_8
; %bb.1:
	s_load_dwordx2 s[0:1], s[4:5], 0x10
	v_mov_b32_e32 v1, 0
	v_mov_b32_e32 v2, 0
	s_add_u32 s2, s18, 8
	s_addc_u32 s3, s19, 0
	s_add_u32 s6, s16, 8
	s_addc_u32 s7, s17, 0
	v_mov_b32_e32 v57, v2
	v_mov_b32_e32 v56, v1
	s_mov_b64 s[22:23], 1
	s_waitcnt lgkmcnt(0)
	s_add_u32 s20, s0, 8
	s_addc_u32 s21, s1, 0
.LBB0_2:                                ; =>This Inner Loop Header: Depth=1
	s_load_dwordx2 s[24:25], s[20:21], 0x0
                                        ; implicit-def: $vgpr60_vgpr61
	s_mov_b32 s0, exec_lo
	s_waitcnt lgkmcnt(0)
	v_or_b32_e32 v4, s25, v6
	v_cmpx_ne_u64_e32 0, v[3:4]
	s_xor_b32 s1, exec_lo, s0
	s_cbranch_execz .LBB0_4
; %bb.3:                                ;   in Loop: Header=BB0_2 Depth=1
	v_cvt_f32_u32_e32 v4, s24
	v_cvt_f32_u32_e32 v8, s25
	s_sub_u32 s0, 0, s24
	s_subb_u32 s26, 0, s25
	v_fmac_f32_e32 v4, 0x4f800000, v8
	v_rcp_f32_e32 v4, v4
	v_mul_f32_e32 v4, 0x5f7ffffc, v4
	v_mul_f32_e32 v8, 0x2f800000, v4
	v_trunc_f32_e32 v8, v8
	v_fmac_f32_e32 v4, 0xcf800000, v8
	v_cvt_u32_f32_e32 v8, v8
	v_cvt_u32_f32_e32 v4, v4
	v_mul_lo_u32 v9, s0, v8
	v_mul_hi_u32 v10, s0, v4
	v_mul_lo_u32 v11, s26, v4
	v_add_nc_u32_e32 v9, v10, v9
	v_mul_lo_u32 v10, s0, v4
	v_add_nc_u32_e32 v9, v9, v11
	v_mul_hi_u32 v11, v4, v10
	v_mul_lo_u32 v12, v4, v9
	v_mul_hi_u32 v13, v4, v9
	v_mul_hi_u32 v14, v8, v10
	v_mul_lo_u32 v10, v8, v10
	v_mul_hi_u32 v15, v8, v9
	v_mul_lo_u32 v9, v8, v9
	v_add_co_u32 v11, vcc_lo, v11, v12
	v_add_co_ci_u32_e32 v12, vcc_lo, 0, v13, vcc_lo
	v_add_co_u32 v10, vcc_lo, v11, v10
	v_add_co_ci_u32_e32 v10, vcc_lo, v12, v14, vcc_lo
	v_add_co_ci_u32_e32 v11, vcc_lo, 0, v15, vcc_lo
	v_add_co_u32 v9, vcc_lo, v10, v9
	v_add_co_ci_u32_e32 v10, vcc_lo, 0, v11, vcc_lo
	v_add_co_u32 v4, vcc_lo, v4, v9
	v_add_co_ci_u32_e32 v8, vcc_lo, v8, v10, vcc_lo
	v_mul_hi_u32 v9, s0, v4
	v_mul_lo_u32 v11, s26, v4
	v_mul_lo_u32 v10, s0, v8
	v_add_nc_u32_e32 v9, v9, v10
	v_mul_lo_u32 v10, s0, v4
	v_add_nc_u32_e32 v9, v9, v11
	v_mul_hi_u32 v11, v4, v10
	v_mul_lo_u32 v12, v4, v9
	v_mul_hi_u32 v13, v4, v9
	v_mul_hi_u32 v14, v8, v10
	v_mul_lo_u32 v10, v8, v10
	v_mul_hi_u32 v15, v8, v9
	v_mul_lo_u32 v9, v8, v9
	v_add_co_u32 v11, vcc_lo, v11, v12
	v_add_co_ci_u32_e32 v12, vcc_lo, 0, v13, vcc_lo
	v_add_co_u32 v10, vcc_lo, v11, v10
	v_add_co_ci_u32_e32 v10, vcc_lo, v12, v14, vcc_lo
	v_add_co_ci_u32_e32 v11, vcc_lo, 0, v15, vcc_lo
	v_add_co_u32 v9, vcc_lo, v10, v9
	v_add_co_ci_u32_e32 v10, vcc_lo, 0, v11, vcc_lo
	v_add_co_u32 v4, vcc_lo, v4, v9
	v_add_co_ci_u32_e32 v12, vcc_lo, v8, v10, vcc_lo
	v_mul_hi_u32 v14, v5, v4
	v_mad_u64_u32 v[10:11], null, v6, v4, 0
	v_mad_u64_u32 v[8:9], null, v5, v12, 0
	v_mad_u64_u32 v[12:13], null, v6, v12, 0
	v_add_co_u32 v4, vcc_lo, v14, v8
	v_add_co_ci_u32_e32 v8, vcc_lo, 0, v9, vcc_lo
	v_add_co_u32 v4, vcc_lo, v4, v10
	v_add_co_ci_u32_e32 v4, vcc_lo, v8, v11, vcc_lo
	v_add_co_ci_u32_e32 v8, vcc_lo, 0, v13, vcc_lo
	v_add_co_u32 v4, vcc_lo, v4, v12
	v_add_co_ci_u32_e32 v10, vcc_lo, 0, v8, vcc_lo
	v_mul_lo_u32 v11, s25, v4
	v_mad_u64_u32 v[8:9], null, s24, v4, 0
	v_mul_lo_u32 v12, s24, v10
	v_sub_co_u32 v8, vcc_lo, v5, v8
	v_add3_u32 v9, v9, v12, v11
	v_sub_nc_u32_e32 v11, v6, v9
	v_subrev_co_ci_u32_e64 v11, s0, s25, v11, vcc_lo
	v_add_co_u32 v12, s0, v4, 2
	v_add_co_ci_u32_e64 v13, s0, 0, v10, s0
	v_sub_co_u32 v14, s0, v8, s24
	v_sub_co_ci_u32_e32 v9, vcc_lo, v6, v9, vcc_lo
	v_subrev_co_ci_u32_e64 v11, s0, 0, v11, s0
	v_cmp_le_u32_e32 vcc_lo, s24, v14
	v_cmp_eq_u32_e64 s0, s25, v9
	v_cndmask_b32_e64 v14, 0, -1, vcc_lo
	v_cmp_le_u32_e32 vcc_lo, s25, v11
	v_cndmask_b32_e64 v15, 0, -1, vcc_lo
	v_cmp_le_u32_e32 vcc_lo, s24, v8
	;; [unrolled: 2-line block ×3, first 2 shown]
	v_cndmask_b32_e64 v16, 0, -1, vcc_lo
	v_cmp_eq_u32_e32 vcc_lo, s25, v11
	v_cndmask_b32_e64 v8, v16, v8, s0
	v_cndmask_b32_e32 v11, v15, v14, vcc_lo
	v_add_co_u32 v14, vcc_lo, v4, 1
	v_add_co_ci_u32_e32 v15, vcc_lo, 0, v10, vcc_lo
	v_cmp_ne_u32_e32 vcc_lo, 0, v11
	v_cndmask_b32_e32 v9, v15, v13, vcc_lo
	v_cndmask_b32_e32 v11, v14, v12, vcc_lo
	v_cmp_ne_u32_e32 vcc_lo, 0, v8
	v_cndmask_b32_e32 v61, v10, v9, vcc_lo
	v_cndmask_b32_e32 v60, v4, v11, vcc_lo
.LBB0_4:                                ;   in Loop: Header=BB0_2 Depth=1
	s_andn2_saveexec_b32 s0, s1
	s_cbranch_execz .LBB0_6
; %bb.5:                                ;   in Loop: Header=BB0_2 Depth=1
	v_cvt_f32_u32_e32 v4, s24
	s_sub_i32 s1, 0, s24
	v_mov_b32_e32 v61, v3
	v_rcp_iflag_f32_e32 v4, v4
	v_mul_f32_e32 v4, 0x4f7ffffe, v4
	v_cvt_u32_f32_e32 v4, v4
	v_mul_lo_u32 v8, s1, v4
	v_mul_hi_u32 v8, v4, v8
	v_add_nc_u32_e32 v4, v4, v8
	v_mul_hi_u32 v4, v5, v4
	v_mul_lo_u32 v8, v4, s24
	v_add_nc_u32_e32 v9, 1, v4
	v_sub_nc_u32_e32 v8, v5, v8
	v_subrev_nc_u32_e32 v10, s24, v8
	v_cmp_le_u32_e32 vcc_lo, s24, v8
	v_cndmask_b32_e32 v8, v8, v10, vcc_lo
	v_cndmask_b32_e32 v4, v4, v9, vcc_lo
	v_cmp_le_u32_e32 vcc_lo, s24, v8
	v_add_nc_u32_e32 v9, 1, v4
	v_cndmask_b32_e32 v60, v4, v9, vcc_lo
.LBB0_6:                                ;   in Loop: Header=BB0_2 Depth=1
	s_or_b32 exec_lo, exec_lo, s0
	v_mul_lo_u32 v4, v61, s24
	v_mul_lo_u32 v10, v60, s25
	s_load_dwordx2 s[0:1], s[6:7], 0x0
	v_mad_u64_u32 v[8:9], null, v60, s24, 0
	s_load_dwordx2 s[24:25], s[2:3], 0x0
	s_add_u32 s22, s22, 1
	s_addc_u32 s23, s23, 0
	s_add_u32 s2, s2, 8
	s_addc_u32 s3, s3, 0
	s_add_u32 s6, s6, 8
	v_add3_u32 v4, v9, v10, v4
	v_sub_co_u32 v5, vcc_lo, v5, v8
	s_addc_u32 s7, s7, 0
	s_add_u32 s20, s20, 8
	v_sub_co_ci_u32_e32 v4, vcc_lo, v6, v4, vcc_lo
	s_addc_u32 s21, s21, 0
	s_waitcnt lgkmcnt(0)
	v_mul_lo_u32 v6, s0, v4
	v_mul_lo_u32 v8, s1, v5
	v_mad_u64_u32 v[1:2], null, s0, v5, v[1:2]
	v_mul_lo_u32 v4, s24, v4
	v_mul_lo_u32 v9, s25, v5
	v_mad_u64_u32 v[56:57], null, s24, v5, v[56:57]
	v_cmp_ge_u64_e64 s0, s[22:23], s[14:15]
	v_add3_u32 v2, v8, v2, v6
	v_add3_u32 v57, v9, v57, v4
	s_and_b32 vcc_lo, exec_lo, s0
	s_cbranch_vccnz .LBB0_9
; %bb.7:                                ;   in Loop: Header=BB0_2 Depth=1
	v_mov_b32_e32 v5, v60
	v_mov_b32_e32 v6, v61
	s_branch .LBB0_2
.LBB0_8:
	v_mov_b32_e32 v57, v2
	v_mov_b32_e32 v61, v6
	;; [unrolled: 1-line block ×4, first 2 shown]
.LBB0_9:
	s_load_dwordx2 s[0:1], s[4:5], 0x28
	v_and_b32_e32 v4, 1, v7
	v_mul_hi_u32 v3, 0x9d89d8a, v0
	s_lshl_b64 s[4:5], s[14:15], 3
                                        ; implicit-def: $vgpr58
                                        ; implicit-def: $vgpr63
                                        ; implicit-def: $vgpr68
                                        ; implicit-def: $vgpr67
                                        ; implicit-def: $vgpr66
                                        ; implicit-def: $vgpr65
                                        ; implicit-def: $vgpr62
	s_add_u32 s2, s18, s4
	s_addc_u32 s3, s19, s5
	s_waitcnt lgkmcnt(0)
	v_cmp_gt_u64_e32 vcc_lo, s[0:1], v[60:61]
	v_cmp_le_u64_e64 s1, s[0:1], v[60:61]
	v_cmp_eq_u32_e64 s0, 1, v4
	s_and_saveexec_b32 s6, s1
	s_xor_b32 s1, exec_lo, s6
; %bb.10:
	v_mul_u32_u24_e32 v1, 26, v3
                                        ; implicit-def: $vgpr3
	v_sub_nc_u32_e32 v58, v0, v1
                                        ; implicit-def: $vgpr0
                                        ; implicit-def: $vgpr1_vgpr2
	v_add_nc_u32_e32 v63, 26, v58
	v_add_nc_u32_e32 v68, 52, v58
	;; [unrolled: 1-line block ×6, first 2 shown]
; %bb.11:
	s_or_saveexec_b32 s1, s1
	v_cndmask_b32_e64 v4, 0, 0x153, s0
	v_lshlrev_b32_e32 v69, 4, v4
	s_xor_b32 exec_lo, exec_lo, s1
	s_cbranch_execz .LBB0_13
; %bb.12:
	s_add_u32 s4, s16, s4
	s_addc_u32 s5, s17, s5
	v_lshlrev_b64 v[1:2], 4, v[1:2]
	s_load_dwordx2 s[4:5], s[4:5], 0x0
	s_waitcnt lgkmcnt(0)
	v_mul_lo_u32 v6, s5, v60
	v_mul_lo_u32 v7, s4, v61
	v_mad_u64_u32 v[4:5], null, s4, v60, 0
	v_add3_u32 v5, v5, v7, v6
	v_mul_u32_u24_e32 v6, 26, v3
	v_lshlrev_b64 v[3:4], 4, v[4:5]
	v_sub_nc_u32_e32 v58, v0, v6
	v_lshlrev_b32_e32 v52, 4, v58
	v_add_co_u32 v0, s0, s8, v3
	v_add_co_ci_u32_e64 v3, s0, s9, v4, s0
	v_add_nc_u32_e32 v63, 26, v58
	v_add_co_u32 v0, s0, v0, v1
	v_add_co_ci_u32_e64 v1, s0, v3, v2, s0
	v_add_nc_u32_e32 v68, 52, v58
	v_add_co_u32 v16, s0, v0, v52
	v_add_co_ci_u32_e64 v17, s0, 0, v1, s0
	s_clause 0x3
	global_load_dwordx4 v[0:3], v[16:17], off
	global_load_dwordx4 v[4:7], v[16:17], off offset:416
	global_load_dwordx4 v[8:11], v[16:17], off offset:832
	;; [unrolled: 1-line block ×3, first 2 shown]
	v_add_co_u32 v36, s0, 0x800, v16
	v_add_co_ci_u32_e64 v37, s0, 0, v17, s0
	v_add_co_u32 v48, s0, 0x1000, v16
	v_add_co_ci_u32_e64 v49, s0, 0, v17, s0
	s_clause 0x8
	global_load_dwordx4 v[16:19], v[16:17], off offset:1664
	global_load_dwordx4 v[20:23], v[36:37], off offset:32
	;; [unrolled: 1-line block ×9, first 2 shown]
	v_add3_u32 v52, 0, v69, v52
	v_add_nc_u32_e32 v67, 0x4e, v58
	v_add_nc_u32_e32 v66, 0x68, v58
	;; [unrolled: 1-line block ×4, first 2 shown]
	s_waitcnt vmcnt(12)
	ds_write_b128 v52, v[0:3]
	s_waitcnt vmcnt(11)
	ds_write_b128 v52, v[4:7] offset:416
	s_waitcnt vmcnt(10)
	ds_write_b128 v52, v[8:11] offset:832
	s_waitcnt vmcnt(9)
	ds_write_b128 v52, v[12:15] offset:1248
	s_waitcnt vmcnt(8)
	ds_write_b128 v52, v[16:19] offset:1664
	s_waitcnt vmcnt(7)
	ds_write_b128 v52, v[20:23] offset:2080
	s_waitcnt vmcnt(6)
	ds_write_b128 v52, v[24:27] offset:2496
	s_waitcnt vmcnt(5)
	ds_write_b128 v52, v[28:31] offset:2912
	s_waitcnt vmcnt(4)
	ds_write_b128 v52, v[32:35] offset:3328
	s_waitcnt vmcnt(3)
	ds_write_b128 v52, v[36:39] offset:3744
	s_waitcnt vmcnt(2)
	ds_write_b128 v52, v[40:43] offset:4160
	s_waitcnt vmcnt(1)
	ds_write_b128 v52, v[44:47] offset:4576
	s_waitcnt vmcnt(0)
	ds_write_b128 v52, v[48:51] offset:4992
.LBB0_13:
	s_or_b32 exec_lo, exec_lo, s1
	v_add_nc_u32_e32 v145, 0, v69
	v_lshlrev_b32_e32 v59, 4, v58
	s_load_dwordx2 s[2:3], s[2:3], 0x0
	s_waitcnt lgkmcnt(0)
	s_barrier
	buffer_gl0_inv
	v_add_nc_u32_e32 v146, v145, v59
	v_add3_u32 v64, 0, v59, v69
	s_mov_b32 s21, 0xbfddbe06
	s_mov_b32 s20, 0x4267c47c
	ds_read_b128 v[0:3], v146
	ds_read_b128 v[4:7], v64 offset:416
	ds_read_b128 v[8:11], v64 offset:832
	;; [unrolled: 1-line block ×4, first 2 shown]
	s_mov_b32 s24, 0x42a4c3d2
	s_mov_b32 s14, 0x2ef20147
	;; [unrolled: 1-line block ×17, first 2 shown]
	s_waitcnt lgkmcnt(3)
	v_add_f64 v[16:17], v[0:1], v[4:5]
	v_add_f64 v[18:19], v[2:3], v[6:7]
	s_mov_b32 s16, 0xd0032e0c
	s_mov_b32 s6, 0x93053d00
	;; [unrolled: 1-line block ×11, first 2 shown]
	s_waitcnt lgkmcnt(2)
	v_add_f64 v[16:17], v[16:17], v[8:9]
	v_add_f64 v[18:19], v[18:19], v[10:11]
	s_waitcnt lgkmcnt(1)
	v_add_f64 v[24:25], v[16:17], v[12:13]
	v_add_f64 v[26:27], v[18:19], v[14:15]
	ds_read_b128 v[16:19], v64 offset:4992
	ds_read_b128 v[40:43], v64 offset:2496
	;; [unrolled: 1-line block ×8, first 2 shown]
	s_waitcnt lgkmcnt(0)
	s_barrier
	buffer_gl0_inv
	v_add_f64 v[82:83], v[6:7], -v[18:19]
	v_add_f64 v[84:85], v[4:5], -v[16:17]
	v_add_f64 v[78:79], v[24:25], v[36:37]
	v_add_f64 v[80:81], v[26:27], v[38:39]
	;; [unrolled: 1-line block ×4, first 2 shown]
	v_add_f64 v[34:35], v[42:43], -v[46:47]
	v_add_f64 v[86:87], v[8:9], -v[20:21]
	;; [unrolled: 1-line block ×3, first 2 shown]
	v_add_f64 v[104:105], v[8:9], v[20:21]
	v_add_f64 v[24:25], v[40:41], v[44:45]
	v_add_f64 v[32:33], v[40:41], -v[44:45]
	v_add_f64 v[106:107], v[10:11], v[22:23]
	v_add_f64 v[96:97], v[14:15], -v[76:77]
	v_add_f64 v[98:99], v[12:13], -v[74:75]
	v_add_f64 v[28:29], v[50:51], v[54:55]
	v_add_f64 v[94:95], v[38:39], v[72:73]
	v_add_f64 v[38:39], v[38:39], -v[72:73]
	v_add_f64 v[100:101], v[12:13], v[74:75]
	v_add_f64 v[102:103], v[14:15], v[76:77]
	;; [unrolled: 1-line block ×4, first 2 shown]
	v_mul_f64 v[8:9], v[82:83], s[20:21]
	v_mul_f64 v[10:11], v[84:85], s[20:21]
	v_add_f64 v[4:5], v[78:79], v[48:49]
	v_add_f64 v[78:79], v[80:81], v[50:51]
	;; [unrolled: 1-line block ×3, first 2 shown]
	v_mul_f64 v[108:109], v[82:83], s[14:15]
	v_add_f64 v[50:51], v[50:51], -v[54:55]
	v_mul_f64 v[12:13], v[82:83], s[24:25]
	v_mul_f64 v[112:113], v[88:89], s[24:25]
	;; [unrolled: 1-line block ×11, first 2 shown]
	v_add_f64 v[48:49], v[48:49], -v[52:53]
	v_add_f64 v[36:37], v[36:37], -v[70:71]
	v_mul_f64 v[124:125], v[98:99], s[28:29]
	v_mul_f64 v[126:127], v[38:39], s[14:15]
	v_fma_f64 v[147:148], v[90:91], s[18:19], -v[8:9]
	v_mul_f64 v[134:135], v[88:89], s[14:15]
	v_add_f64 v[40:41], v[4:5], v[40:41]
	v_add_f64 v[42:43], v[78:79], v[42:43]
	v_mul_f64 v[78:79], v[86:87], s[24:25]
	v_fma_f64 v[155:156], v[80:81], s[18:19], v[10:11]
	v_fma_f64 v[171:172], v[90:91], s[4:5], -v[108:109]
	v_mul_f64 v[136:137], v[86:87], s[14:15]
	v_fma_f64 v[173:174], v[104:105], s[8:9], -v[112:113]
	v_mul_f64 v[138:139], v[88:89], s[26:27]
	v_fma_f64 v[8:9], v[90:91], s[18:19], v[8:9]
	v_fma_f64 v[167:168], v[90:91], s[8:9], -v[12:13]
	v_fma_f64 v[12:13], v[90:91], s[8:9], v[12:13]
	v_fma_f64 v[169:170], v[90:91], s[0:1], -v[14:15]
	;; [unrolled: 2-line block ×4, first 2 shown]
	v_fma_f64 v[114:115], v[80:81], s[8:9], -v[114:115]
	v_fma_f64 v[82:83], v[90:91], s[6:7], v[82:83]
	v_fma_f64 v[179:180], v[80:81], s[4:5], v[118:119]
	v_fma_f64 v[118:119], v[80:81], s[4:5], -v[118:119]
	v_fma_f64 v[181:182], v[80:81], s[16:17], v[120:121]
	v_fma_f64 v[120:121], v[80:81], s[16:17], -v[120:121]
	v_add_f64 v[40:41], v[40:41], v[44:45]
	v_add_f64 v[42:43], v[42:43], v[46:47]
	v_fma_f64 v[183:184], v[80:81], s[6:7], v[84:85]
	v_add_f64 v[155:156], v[2:3], v[155:156]
	v_mul_f64 v[128:129], v[36:37], s[14:15]
	v_mul_f64 v[140:141], v[86:87], s[26:27]
	;; [unrolled: 1-line block ×6, first 2 shown]
	v_add_f64 v[185:186], v[0:1], v[8:9]
	v_add_f64 v[8:9], v[0:1], v[167:168]
	;; [unrolled: 1-line block ×7, first 2 shown]
	v_mul_f64 v[132:133], v[48:49], s[22:23]
	v_mul_f64 v[165:166], v[86:87], s[34:35]
	v_add_f64 v[14:15], v[0:1], v[14:15]
	v_add_f64 v[169:170], v[0:1], v[171:172]
	v_add_f64 v[177:178], v[0:1], v[177:178]
	v_add_f64 v[40:41], v[40:41], v[52:53]
	v_add_f64 v[42:43], v[42:43], v[54:55]
	v_fma_f64 v[54:55], v[90:91], s[4:5], v[108:109]
	v_add_f64 v[108:109], v[0:1], v[147:148]
	v_fma_f64 v[52:53], v[106:107], s[8:9], v[78:79]
	v_fma_f64 v[147:148], v[90:91], s[16:17], -v[110:111]
	v_fma_f64 v[110:111], v[90:91], s[16:17], v[110:111]
	v_fma_f64 v[90:91], v[80:81], s[0:1], v[116:117]
	v_fma_f64 v[116:117], v[80:81], s[0:1], -v[116:117]
	v_fma_f64 v[80:81], v[80:81], s[6:7], -v[84:85]
	;; [unrolled: 1-line block ×3, first 2 shown]
	s_mov_b32 s21, 0x3fddbe06
	v_mul_f64 v[149:150], v[96:97], s[36:37]
	v_mul_f64 v[151:152], v[98:99], s[36:37]
	;; [unrolled: 1-line block ×6, first 2 shown]
	v_add_f64 v[171:172], v[2:3], v[179:180]
	v_mul_f64 v[159:160], v[50:51], s[30:31]
	v_mul_f64 v[161:162], v[48:49], s[30:31]
	v_add_f64 v[118:119], v[2:3], v[118:119]
	v_add_f64 v[40:41], v[40:41], v[70:71]
	;; [unrolled: 1-line block ×3, first 2 shown]
	v_fma_f64 v[70:71], v[102:103], s[0:1], v[124:125]
	v_add_f64 v[108:109], v[173:174], v[108:109]
	v_add_f64 v[52:53], v[52:53], v[155:156]
	v_fma_f64 v[72:73], v[104:105], s[4:5], -v[134:135]
	v_fma_f64 v[173:174], v[106:107], s[4:5], v[136:137]
	v_fma_f64 v[134:135], v[104:105], s[4:5], v[134:135]
	v_fma_f64 v[136:137], v[106:107], s[4:5], -v[136:137]
	v_fma_f64 v[155:156], v[104:105], s[6:7], -v[138:139]
	v_add_f64 v[54:55], v[0:1], v[54:55]
	v_add_f64 v[147:148], v[0:1], v[147:148]
	;; [unrolled: 1-line block ×4, first 2 shown]
	v_fma_f64 v[82:83], v[106:107], s[6:7], v[140:141]
	v_add_f64 v[90:91], v[2:3], v[90:91]
	v_add_f64 v[116:117], v[2:3], v[116:117]
	v_fma_f64 v[138:139], v[104:105], s[6:7], v[138:139]
	v_mul_f64 v[163:164], v[50:51], s[24:25]
	s_mov_b32 s27, 0x3fcea1e5
	v_add_f64 v[175:176], v[2:3], v[181:182]
	v_add_f64 v[120:121], v[2:3], v[120:121]
	;; [unrolled: 1-line block ×4, first 2 shown]
	v_fma_f64 v[76:77], v[106:107], s[6:7], -v[140:141]
	v_add_f64 v[84:85], v[84:85], v[108:109]
	v_fma_f64 v[108:109], v[92:93], s[4:5], -v[126:127]
	v_fma_f64 v[140:141], v[94:95], s[4:5], v[128:129]
	v_add_f64 v[52:53], v[70:71], v[52:53]
	v_fma_f64 v[70:71], v[104:105], s[16:17], -v[142:143]
	v_add_f64 v[8:9], v[72:73], v[8:9]
	v_add_f64 v[10:11], v[173:174], v[10:11]
	;; [unrolled: 1-line block ×3, first 2 shown]
	v_fma_f64 v[134:135], v[100:101], s[6:7], -v[44:45]
	v_add_f64 v[114:115], v[136:137], v[114:115]
	v_fma_f64 v[136:137], v[102:103], s[6:7], v[46:47]
	v_add_f64 v[155:156], v[155:156], v[167:168]
	v_mul_f64 v[167:168], v[96:97], s[20:21]
	v_fma_f64 v[44:45], v[100:101], s[6:7], v[44:45]
	v_fma_f64 v[46:47], v[102:103], s[6:7], -v[46:47]
	v_fma_f64 v[72:73], v[106:107], s[16:17], v[165:166]
	v_fma_f64 v[142:143], v[104:105], s[16:17], v[142:143]
	v_add_f64 v[82:83], v[82:83], v[90:91]
	v_mul_f64 v[90:91], v[98:99], s[20:21]
	v_add_f64 v[14:15], v[138:139], v[14:15]
	v_fma_f64 v[138:139], v[100:101], s[4:5], -v[149:150]
	v_add_f64 v[76:77], v[76:77], v[116:117]
	v_mul_f64 v[116:117], v[38:39], s[20:21]
	v_add_f64 v[84:85], v[108:109], v[84:85]
	v_fma_f64 v[108:109], v[30:31], s[16:17], -v[130:131]
	v_add_f64 v[52:53], v[140:141], v[52:53]
	v_fma_f64 v[140:141], v[28:29], s[16:17], v[132:133]
	v_add_f64 v[70:71], v[70:71], v[169:170]
	v_mul_f64 v[169:170], v[36:37], s[20:21]
	v_fma_f64 v[149:150], v[100:101], s[4:5], v[149:150]
	v_add_f64 v[8:9], v[134:135], v[8:9]
	v_mul_f64 v[74:75], v[38:39], s[28:29]
	v_add_f64 v[10:11], v[136:137], v[10:11]
	v_fma_f64 v[136:137], v[102:103], s[4:5], v[151:152]
	v_fma_f64 v[134:135], v[26:27], s[6:7], v[6:7]
	v_add_f64 v[12:13], v[44:45], v[12:13]
	v_fma_f64 v[44:45], v[92:93], s[16:17], -v[153:154]
	v_add_f64 v[46:47], v[46:47], v[114:115]
	v_fma_f64 v[114:115], v[100:101], s[18:19], -v[167:168]
	v_fma_f64 v[153:154], v[92:93], s[16:17], v[153:154]
	v_add_f64 v[72:73], v[72:73], v[171:172]
	v_fma_f64 v[171:172], v[24:25], s[6:7], -v[4:5]
	v_add_f64 v[20:21], v[40:41], v[20:21]
	v_add_f64 v[54:55], v[142:143], v[54:55]
	v_fma_f64 v[165:166], v[106:107], s[16:17], -v[165:166]
	v_fma_f64 v[167:168], v[100:101], s[18:19], v[167:168]
	v_add_f64 v[84:85], v[108:109], v[84:85]
	v_fma_f64 v[108:109], v[94:95], s[16:17], v[157:158]
	v_add_f64 v[52:53], v[140:141], v[52:53]
	v_mul_f64 v[173:174], v[36:37], s[28:29]
	v_add_f64 v[138:139], v[138:139], v[155:156]
	v_fma_f64 v[155:156], v[102:103], s[18:19], v[90:91]
	v_fma_f64 v[157:158], v[94:95], s[16:17], -v[157:158]
	v_fma_f64 v[140:141], v[92:93], s[18:19], -v[116:117]
	v_add_f64 v[22:23], v[42:43], v[22:23]
	v_mul_f64 v[40:41], v[88:89], s[30:31]
	v_fma_f64 v[42:43], v[30:31], s[0:1], -v[159:160]
	v_fma_f64 v[142:143], v[28:29], s[0:1], v[161:162]
	v_fma_f64 v[159:160], v[30:31], s[0:1], v[159:160]
	v_add_f64 v[82:83], v[136:137], v[82:83]
	v_fma_f64 v[136:137], v[94:95], s[18:19], v[169:170]
	v_fma_f64 v[116:117], v[92:93], s[18:19], v[116:117]
	v_add_f64 v[149:150], v[149:150], v[14:15]
	v_add_f64 v[70:71], v[114:115], v[70:71]
	;; [unrolled: 1-line block ×5, first 2 shown]
	v_fma_f64 v[16:17], v[92:93], s[0:1], -v[74:75]
	v_add_f64 v[8:9], v[171:172], v[84:85]
	v_add_f64 v[108:109], v[108:109], v[10:11]
	;; [unrolled: 1-line block ×3, first 2 shown]
	v_mul_f64 v[20:21], v[50:51], s[26:27]
	v_add_f64 v[52:53], v[165:166], v[118:119]
	v_add_f64 v[54:55], v[167:168], v[54:55]
	v_fma_f64 v[84:85], v[102:103], s[18:19], -v[90:91]
	v_fma_f64 v[74:75], v[92:93], s[0:1], v[74:75]
	v_fma_f64 v[151:152], v[102:103], s[4:5], -v[151:152]
	v_add_f64 v[72:73], v[155:156], v[72:73]
	v_add_f64 v[46:47], v[157:158], v[46:47]
	;; [unrolled: 1-line block ×4, first 2 shown]
	v_fma_f64 v[18:19], v[94:95], s[0:1], v[173:174]
	v_mul_f64 v[22:23], v[48:49], s[26:27]
	v_add_f64 v[82:83], v[136:137], v[82:83]
	v_add_f64 v[90:91], v[116:117], v[149:150]
	v_fma_f64 v[116:117], v[104:105], s[0:1], -v[40:41]
	v_mul_f64 v[118:119], v[86:87], s[30:31]
	v_mul_f64 v[134:135], v[96:97], s[24:25]
	v_fma_f64 v[136:137], v[28:29], s[0:1], -v[161:162]
	v_add_f64 v[42:43], v[42:43], v[44:45]
	v_mul_f64 v[88:89], v[88:89], s[20:21]
	v_add_f64 v[44:45], v[142:143], v[108:109]
	v_add_f64 v[108:109], v[159:160], v[114:115]
	v_fma_f64 v[114:115], v[30:31], s[8:9], -v[163:164]
	v_mul_f64 v[86:87], v[86:87], s[20:21]
	v_add_f64 v[16:17], v[16:17], v[70:71]
	v_fma_f64 v[70:71], v[30:31], s[6:7], -v[20:21]
	v_add_f64 v[52:53], v[84:85], v[52:53]
	v_add_f64 v[54:55], v[74:75], v[54:55]
	v_fma_f64 v[74:75], v[94:95], s[0:1], -v[173:174]
	v_fma_f64 v[20:21], v[30:31], s[6:7], v[20:21]
	v_add_f64 v[179:180], v[2:3], v[183:184]
	v_add_f64 v[2:3], v[2:3], v[80:81]
	v_mul_f64 v[80:81], v[48:49], s[24:25]
	v_fma_f64 v[169:170], v[94:95], s[18:19], -v[169:170]
	v_add_f64 v[76:77], v[151:152], v[76:77]
	v_add_f64 v[18:19], v[18:19], v[72:73]
	v_fma_f64 v[72:73], v[28:29], s[6:7], v[22:23]
	v_add_f64 v[84:85], v[116:117], v[147:148]
	v_fma_f64 v[116:117], v[106:107], s[0:1], v[118:119]
	v_fma_f64 v[147:148], v[100:101], s[8:9], -v[134:135]
	v_add_f64 v[46:47], v[136:137], v[46:47]
	v_mul_f64 v[136:137], v[98:99], s[24:25]
	v_fma_f64 v[40:41], v[104:105], s[0:1], v[40:41]
	v_fma_f64 v[118:119], v[106:107], s[0:1], -v[118:119]
	v_fma_f64 v[151:152], v[104:105], s[18:19], -v[88:89]
	v_add_f64 v[114:115], v[114:115], v[138:139]
	v_fma_f64 v[138:139], v[106:107], s[18:19], v[86:87]
	v_fma_f64 v[88:89], v[104:105], s[18:19], v[88:89]
	v_mul_f64 v[96:97], v[96:97], s[22:23]
	v_mul_f64 v[98:99], v[98:99], s[22:23]
	v_fma_f64 v[86:87], v[106:107], s[18:19], -v[86:87]
	v_fma_f64 v[104:105], v[104:105], s[8:9], v[112:113]
	v_add_f64 v[70:71], v[70:71], v[16:17]
	v_add_f64 v[16:17], v[74:75], v[52:53]
	;; [unrolled: 1-line block ×3, first 2 shown]
	v_fma_f64 v[54:55], v[106:107], s[8:9], -v[78:79]
	v_add_f64 v[76:77], v[169:170], v[76:77]
	v_fma_f64 v[140:141], v[28:29], s[8:9], v[80:81]
	v_fma_f64 v[80:81], v[28:29], s[8:9], -v[80:81]
	v_mul_f64 v[149:150], v[38:39], s[26:27]
	s_mov_b32 s25, 0x3fea55e2
	v_add_f64 v[72:73], v[72:73], v[18:19]
	v_add_f64 v[18:19], v[116:117], v[175:176]
	;; [unrolled: 1-line block ×6, first 2 shown]
	v_fma_f64 v[106:107], v[100:101], s[8:9], v[134:135]
	v_add_f64 v[110:111], v[138:139], v[179:180]
	v_fma_f64 v[112:113], v[102:103], s[8:9], -v[136:137]
	v_add_f64 v[0:1], v[88:89], v[0:1]
	v_fma_f64 v[88:89], v[100:101], s[16:17], -v[96:97]
	v_mul_f64 v[116:117], v[36:37], s[26:27]
	v_fma_f64 v[118:119], v[102:103], s[16:17], v[98:99]
	v_fma_f64 v[74:75], v[102:103], s[8:9], v[136:137]
	v_add_f64 v[2:3], v[86:87], v[2:3]
	v_add_f64 v[86:87], v[104:105], v[185:186]
	v_fma_f64 v[96:97], v[100:101], s[16:17], v[96:97]
	v_fma_f64 v[98:99], v[102:103], s[16:17], -v[98:99]
	v_mul_f64 v[38:39], v[38:39], s[24:25]
	v_fma_f64 v[100:101], v[100:101], s[0:1], v[122:123]
	v_mul_f64 v[36:37], v[36:37], s[24:25]
	v_add_f64 v[54:55], v[54:55], v[187:188]
	v_fma_f64 v[102:103], v[102:103], s[0:1], -v[124:125]
	v_add_f64 v[76:77], v[80:81], v[76:77]
	v_fma_f64 v[80:81], v[92:93], s[6:7], -v[149:150]
	v_mul_f64 v[104:105], v[34:35], s[20:21]
	v_fma_f64 v[22:23], v[28:29], s[6:7], -v[22:23]
	v_fma_f64 v[142:143], v[30:31], s[8:9], v[163:164]
	v_add_f64 v[40:41], v[106:107], v[40:41]
	v_mul_f64 v[106:107], v[32:33], s[22:23]
	v_add_f64 v[78:79], v[112:113], v[78:79]
	v_mul_f64 v[112:113], v[50:51], s[20:21]
	v_add_f64 v[84:85], v[88:89], v[84:85]
	v_fma_f64 v[88:89], v[94:95], s[6:7], v[116:117]
	v_add_f64 v[110:111], v[118:119], v[110:111]
	v_fma_f64 v[118:119], v[92:93], s[6:7], v[149:150]
	v_fma_f64 v[116:117], v[94:95], s[6:7], -v[116:117]
	v_add_f64 v[18:19], v[74:75], v[18:19]
	v_add_f64 v[0:1], v[96:97], v[0:1]
	v_mul_f64 v[96:97], v[48:49], s[20:21]
	v_add_f64 v[2:3], v[98:99], v[2:3]
	v_fma_f64 v[98:99], v[92:93], s[8:9], -v[38:39]
	v_add_f64 v[86:87], v[100:101], v[86:87]
	v_fma_f64 v[100:101], v[94:95], s[8:9], v[36:37]
	v_fma_f64 v[38:39], v[92:93], s[8:9], v[38:39]
	v_fma_f64 v[36:37], v[94:95], s[8:9], -v[36:37]
	v_add_f64 v[54:55], v[102:103], v[54:55]
	v_fma_f64 v[92:93], v[92:93], s[4:5], v[126:127]
	v_mul_f64 v[50:51], v[50:51], s[14:15]
	v_fma_f64 v[94:95], v[94:95], s[4:5], -v[128:129]
	v_mul_f64 v[48:49], v[48:49], s[14:15]
	v_mul_f64 v[74:75], v[32:33], s[20:21]
	v_add_f64 v[20:21], v[80:81], v[20:21]
	v_mul_f64 v[80:81], v[34:35], s[22:23]
	v_fma_f64 v[102:103], v[24:25], s[18:19], -v[104:105]
	v_add_f64 v[82:83], v[140:141], v[82:83]
	v_add_f64 v[128:129], v[22:23], v[16:17]
	v_add_f64 v[40:41], v[118:119], v[40:41]
	v_mul_f64 v[118:119], v[34:35], s[24:25]
	v_add_f64 v[78:79], v[116:117], v[78:79]
	v_mul_f64 v[116:117], v[32:33], s[24:25]
	v_add_f64 v[18:19], v[88:89], v[18:19]
	v_fma_f64 v[88:89], v[26:27], s[16:17], v[106:107]
	v_add_f64 v[84:85], v[98:99], v[84:85]
	v_fma_f64 v[98:99], v[30:31], s[18:19], -v[112:113]
	v_add_f64 v[100:101], v[100:101], v[110:111]
	v_fma_f64 v[110:111], v[28:29], s[18:19], v[96:97]
	v_add_f64 v[0:1], v[38:39], v[0:1]
	v_mul_f64 v[38:39], v[34:35], s[14:15]
	v_add_f64 v[2:3], v[36:37], v[2:3]
	v_mul_f64 v[36:37], v[32:33], s[14:15]
	v_add_f64 v[86:87], v[92:93], v[86:87]
	v_fma_f64 v[92:93], v[30:31], s[4:5], -v[50:51]
	v_add_f64 v[54:55], v[94:95], v[54:55]
	v_fma_f64 v[94:95], v[28:29], s[4:5], v[48:49]
	v_mul_f64 v[34:35], v[34:35], s[30:31]
	v_mul_f64 v[32:33], v[32:33], s[30:31]
	v_fma_f64 v[50:51], v[30:31], s[4:5], v[50:51]
	v_fma_f64 v[48:49], v[28:29], s[4:5], -v[48:49]
	v_fma_f64 v[112:113], v[30:31], s[18:19], v[112:113]
	v_fma_f64 v[96:97], v[28:29], s[18:19], -v[96:97]
	v_fma_f64 v[30:31], v[30:31], s[16:17], v[130:131]
	v_fma_f64 v[28:29], v[28:29], s[16:17], -v[132:133]
	v_fma_f64 v[120:121], v[26:27], s[18:19], v[74:75]
	v_fma_f64 v[122:123], v[24:25], s[16:17], -v[80:81]
	v_fma_f64 v[124:125], v[24:25], s[8:9], -v[118:119]
	v_fma_f64 v[126:127], v[26:27], s[8:9], v[116:117]
	v_add_f64 v[98:99], v[98:99], v[20:21]
	v_add_f64 v[110:111], v[110:111], v[18:19]
	v_fma_f64 v[74:75], v[26:27], s[18:19], -v[74:75]
	v_fma_f64 v[130:131], v[24:25], s[4:5], -v[38:39]
	v_fma_f64 v[118:119], v[24:25], s[8:9], v[118:119]
	v_fma_f64 v[132:133], v[26:27], s[4:5], v[36:37]
	v_fma_f64 v[116:117], v[26:27], s[8:9], -v[116:117]
	v_add_f64 v[84:85], v[92:93], v[84:85]
	v_add_f64 v[90:91], v[142:143], v[90:91]
	;; [unrolled: 1-line block ×3, first 2 shown]
	v_fma_f64 v[94:95], v[24:25], s[0:1], -v[34:35]
	v_fma_f64 v[100:101], v[26:27], s[0:1], v[32:33]
	v_add_f64 v[0:1], v[50:51], v[0:1]
	v_add_f64 v[2:3], v[48:49], v[2:3]
	v_fma_f64 v[34:35], v[24:25], s[0:1], v[34:35]
	v_fma_f64 v[50:51], v[26:27], s[0:1], -v[32:33]
	v_add_f64 v[40:41], v[112:113], v[40:41]
	v_add_f64 v[78:79], v[96:97], v[78:79]
	v_fma_f64 v[96:97], v[24:25], s[4:5], v[38:39]
	v_fma_f64 v[112:113], v[26:27], s[4:5], -v[36:37]
	v_fma_f64 v[80:81], v[24:25], s[16:17], v[80:81]
	v_fma_f64 v[106:107], v[26:27], s[16:17], -v[106:107]
	v_fma_f64 v[104:105], v[24:25], s[18:19], v[104:105]
	v_add_f64 v[86:87], v[30:31], v[86:87]
	v_add_f64 v[54:55], v[28:29], v[54:55]
	v_fma_f64 v[134:135], v[24:25], s[6:7], v[4:5]
	v_fma_f64 v[136:137], v[26:27], s[6:7], -v[6:7]
	v_add_f64 v[4:5], v[102:103], v[42:43]
	v_add_f64 v[6:7], v[120:121], v[44:45]
	;; [unrolled: 1-line block ×22, first 2 shown]
	v_mad_u32_u24 v52, 0xc0, v58, v64
	v_lshl_add_u32 v150, v68, 4, v145
	v_lshl_add_u32 v149, v67, 4, v145
	v_lshl_add_u32 v148, v66, 4, v145
	ds_write_b128 v52, v[12:15]
	ds_write_b128 v52, v[8:11] offset:16
	ds_write_b128 v52, v[4:7] offset:32
	;; [unrolled: 1-line block ×12, first 2 shown]
	s_waitcnt lgkmcnt(0)
	s_barrier
	buffer_gl0_inv
	ds_read_b128 v[8:11], v146
	ds_read_b128 v[32:35], v64 offset:2704
	v_lshl_add_u32 v151, v63, 4, v145
	ds_read_b128 v[40:43], v64 offset:3120
	ds_read_b128 v[36:39], v64 offset:3536
	v_lshl_add_u32 v147, v65, 4, v145
	ds_read_b128 v[16:19], v150
	ds_read_b128 v[12:15], v149
	ds_read_b128 v[48:51], v64 offset:3952
	ds_read_b128 v[44:47], v64 offset:4368
	ds_read_b128 v[24:27], v148
	ds_read_b128 v[20:23], v147
	;; [unrolled: 1-line block ×3, first 2 shown]
	ds_read_b128 v[52:55], v64 offset:4784
	v_cmp_gt_u32_e64 s0, 13, v58
	v_lshlrev_b32_e32 v70, 4, v62
                                        ; implicit-def: $vgpr6_vgpr7
	s_and_saveexec_b32 s1, s0
	s_cbranch_execz .LBB0_15
; %bb.14:
	v_add3_u32 v0, 0, v70, v69
	ds_read_b128 v[0:3], v0
	ds_read_b128 v[4:7], v64 offset:5200
.LBB0_15:
	s_or_b32 exec_lo, exec_lo, s1
	v_and_b32_e32 v71, 0xff, v63
	v_add_nc_u32_e32 v72, -13, v58
	v_mov_b32_e32 v97, 0
	v_and_b32_e32 v73, 0xff, v68
	v_and_b32_e32 v75, 0xff, v67
	v_mul_lo_u16 v71, 0x4f, v71
	v_cndmask_b32_e64 v96, v72, v58, s0
	v_and_b32_e32 v76, 0xff, v66
	v_mul_lo_u16 v78, 0x4f, v73
	v_and_b32_e32 v77, 0xff, v65
	v_lshrrev_b16 v109, 10, v71
	v_lshlrev_b64 v[71:72], 4, v[96:97]
	v_lshrrev_b16 v110, 10, v78
	v_mul_lo_u16 v79, v109, 13
	v_add_co_u32 v73, s1, s12, v71
	v_mul_lo_u16 v71, 0x4f, v75
	v_add_co_ci_u32_e64 v74, s1, s13, v72, s1
	v_mul_lo_u16 v72, 0x4f, v76
	v_mul_lo_u16 v75, 0x4f, v77
	v_lshrrev_b16 v111, 10, v71
	v_mul_lo_u16 v77, v110, 13
	v_sub_nc_u16 v76, v63, v79
	v_lshrrev_b16 v112, 10, v72
	v_lshrrev_b16 v113, 10, v75
	v_mov_b32_e32 v71, 4
	v_mul_lo_u16 v72, v111, 13
	v_sub_nc_u16 v75, v68, v77
	v_mul_lo_u16 v77, v112, 13
	v_mul_lo_u16 v78, v113, 13
	v_lshlrev_b32_sdwa v114, v71, v76 dst_sel:DWORD dst_unused:UNUSED_PAD src0_sel:DWORD src1_sel:BYTE_0
	v_sub_nc_u16 v76, v67, v72
	v_lshlrev_b32_sdwa v115, v71, v75 dst_sel:DWORD dst_unused:UNUSED_PAD src0_sel:DWORD src1_sel:BYTE_0
	v_sub_nc_u16 v80, v66, v77
	v_sub_nc_u16 v84, v65, v78
	global_load_dwordx4 v[72:75], v[73:74], off
	v_lshlrev_b32_sdwa v116, v71, v76 dst_sel:DWORD dst_unused:UNUSED_PAD src0_sel:DWORD src1_sel:BYTE_0
	global_load_dwordx4 v[76:79], v114, s[12:13]
	v_lshlrev_b32_sdwa v117, v71, v80 dst_sel:DWORD dst_unused:UNUSED_PAD src0_sel:DWORD src1_sel:BYTE_0
	global_load_dwordx4 v[80:83], v115, s[12:13]
	v_lshlrev_b32_sdwa v118, v71, v84 dst_sel:DWORD dst_unused:UNUSED_PAD src0_sel:DWORD src1_sel:BYTE_0
	s_clause 0x2
	global_load_dwordx4 v[84:87], v116, s[12:13]
	global_load_dwordx4 v[88:91], v117, s[12:13]
	;; [unrolled: 1-line block ×3, first 2 shown]
	v_cmp_lt_u32_e64 s1, 12, v58
	s_waitcnt vmcnt(0) lgkmcnt(0)
	s_barrier
	buffer_gl0_inv
	v_mul_f64 v[97:98], v[34:35], v[74:75]
	v_mul_f64 v[74:75], v[32:33], v[74:75]
	;; [unrolled: 1-line block ×12, first 2 shown]
	v_fma_f64 v[32:33], v[32:33], v[72:73], -v[97:98]
	v_fma_f64 v[34:35], v[34:35], v[72:73], v[74:75]
	v_fma_f64 v[40:41], v[40:41], v[76:77], -v[99:100]
	v_fma_f64 v[42:43], v[42:43], v[76:77], v[78:79]
	;; [unrolled: 2-line block ×6, first 2 shown]
	v_cndmask_b32_e64 v36, 0, 0x1a0, s1
	v_lshlrev_b32_e32 v81, 4, v96
	v_add_nc_u32_e32 v80, 0, v36
	v_add_f64 v[32:33], v[8:9], -v[32:33]
	v_add_f64 v[34:35], v[10:11], -v[34:35]
	;; [unrolled: 1-line block ×12, first 2 shown]
	v_and_b32_e32 v73, 0xffff, v109
	v_and_b32_e32 v74, 0xffff, v110
	;; [unrolled: 1-line block ×5, first 2 shown]
	v_mad_u32_u24 v73, 0x1a0, v73, 0
	v_mad_u32_u24 v74, 0x1a0, v74, 0
	v_add3_u32 v72, v80, v81, v69
	v_mad_u32_u24 v75, 0x1a0, v75, 0
	v_mad_u32_u24 v76, 0x1a0, v76, 0
	v_fma_f64 v[8:9], v[8:9], 2.0, -v[32:33]
	v_fma_f64 v[10:11], v[10:11], 2.0, -v[34:35]
	;; [unrolled: 1-line block ×12, first 2 shown]
	v_mad_u32_u24 v77, 0x1a0, v77, 0
	v_add3_u32 v73, v73, v114, v69
	v_add3_u32 v74, v74, v115, v69
	;; [unrolled: 1-line block ×5, first 2 shown]
	ds_write_b128 v72, v[32:35] offset:208
	ds_write_b128 v72, v[8:11]
	ds_write_b128 v73, v[36:39] offset:208
	ds_write_b128 v73, v[28:31]
	ds_write_b128 v74, v[16:19]
	ds_write_b128 v74, v[40:43] offset:208
	ds_write_b128 v75, v[12:15]
	ds_write_b128 v75, v[44:47] offset:208
	;; [unrolled: 2-line block ×4, first 2 shown]
	s_and_saveexec_b32 s1, s0
	s_cbranch_execz .LBB0_17
; %bb.16:
	v_and_b32_e32 v8, 0xff, v62
	v_mul_lo_u16 v8, 0x4f, v8
	v_lshrrev_b16 v8, 10, v8
	v_mul_lo_u16 v8, v8, 13
	v_sub_nc_u16 v8, v62, v8
	v_lshlrev_b32_sdwa v14, v71, v8 dst_sel:DWORD dst_unused:UNUSED_PAD src0_sel:DWORD src1_sel:BYTE_0
	global_load_dwordx4 v[8:11], v14, s[12:13]
	s_waitcnt vmcnt(0)
	v_mul_f64 v[12:13], v[4:5], v[10:11]
	v_mul_f64 v[10:11], v[6:7], v[10:11]
	v_fma_f64 v[6:7], v[6:7], v[8:9], v[12:13]
	v_fma_f64 v[4:5], v[4:5], v[8:9], -v[10:11]
	v_add3_u32 v8, 0, v14, v69
	v_add_f64 v[6:7], v[2:3], -v[6:7]
	v_add_f64 v[4:5], v[0:1], -v[4:5]
	v_fma_f64 v[2:3], v[2:3], 2.0, -v[6:7]
	v_fma_f64 v[0:1], v[0:1], 2.0, -v[4:5]
	ds_write_b128 v8, v[0:3] offset:4992
	ds_write_b128 v8, v[4:7] offset:5200
.LBB0_17:
	s_or_b32 exec_lo, exec_lo, s1
	v_mul_u32_u24_e32 v0, 12, v58
	s_waitcnt lgkmcnt(0)
	s_barrier
	buffer_gl0_inv
	s_mov_b32 s26, 0x42a4c3d2
	v_lshlrev_b32_e32 v0, 4, v0
	s_mov_b32 s18, 0x2ef20147
	s_mov_b32 s30, 0x4bc48dbf
	;; [unrolled: 1-line block ×4, first 2 shown]
	s_clause 0x1
	global_load_dwordx4 v[1:4], v0, s[12:13] offset:208
	global_load_dwordx4 v[5:8], v0, s[12:13] offset:224
	ds_read_b128 v[9:12], v151
	ds_read_b128 v[71:74], v64 offset:4992
	ds_read_b128 v[16:19], v150
	global_load_dwordx4 v[22:25], v0, s[12:13] offset:240
	s_mov_b32 s19, 0xbfedeba7
	s_mov_b32 s31, 0xbfcea1e5
	;; [unrolled: 1-line block ×18, first 2 shown]
	s_waitcnt vmcnt(2) lgkmcnt(2)
	v_mul_f64 v[13:14], v[11:12], v[3:4]
	v_mul_f64 v[3:4], v[9:10], v[3:4]
	v_fma_f64 v[13:14], v[9:10], v[1:2], -v[13:14]
	v_fma_f64 v[75:76], v[11:12], v[1:2], v[3:4]
	ds_read_b128 v[1:4], v149
	s_waitcnt vmcnt(1) lgkmcnt(1)
	v_mul_f64 v[9:10], v[18:19], v[7:8]
	v_mul_f64 v[7:8], v[16:17], v[7:8]
	v_fma_f64 v[16:17], v[16:17], v[5:6], -v[9:10]
	v_fma_f64 v[18:19], v[18:19], v[5:6], v[7:8]
	global_load_dwordx4 v[5:8], v0, s[12:13] offset:256
	s_waitcnt vmcnt(1) lgkmcnt(0)
	v_mul_f64 v[9:10], v[3:4], v[24:25]
	v_mul_f64 v[11:12], v[1:2], v[24:25]
	v_fma_f64 v[20:21], v[1:2], v[22:23], -v[9:10]
	v_fma_f64 v[22:23], v[3:4], v[22:23], v[11:12]
	ds_read_b128 v[1:4], v148
	ds_read_b128 v[9:12], v147
	s_waitcnt vmcnt(0) lgkmcnt(1)
	v_mul_f64 v[24:25], v[3:4], v[7:8]
	v_fma_f64 v[24:25], v[1:2], v[5:6], -v[24:25]
	v_mul_f64 v[1:2], v[1:2], v[7:8]
	v_fma_f64 v[26:27], v[3:4], v[5:6], v[1:2]
	s_clause 0x1
	global_load_dwordx4 v[1:4], v0, s[12:13] offset:272
	global_load_dwordx4 v[5:8], v0, s[12:13] offset:288
	s_waitcnt vmcnt(1) lgkmcnt(0)
	v_mul_f64 v[28:29], v[11:12], v[3:4]
	v_mul_f64 v[3:4], v[9:10], v[3:4]
	v_fma_f64 v[28:29], v[9:10], v[1:2], -v[28:29]
	v_fma_f64 v[30:31], v[11:12], v[1:2], v[3:4]
	v_add3_u32 v1, 0, v70, v69
	ds_read_b128 v[1:4], v1
	s_waitcnt vmcnt(0) lgkmcnt(0)
	v_mul_f64 v[9:10], v[3:4], v[7:8]
	v_fma_f64 v[32:33], v[1:2], v[5:6], -v[9:10]
	v_mul_f64 v[1:2], v[1:2], v[7:8]
	v_fma_f64 v[34:35], v[3:4], v[5:6], v[1:2]
	s_clause 0x1
	global_load_dwordx4 v[1:4], v0, s[12:13] offset:304
	global_load_dwordx4 v[5:8], v0, s[12:13] offset:320
	ds_read_b128 v[9:12], v64 offset:2912
	ds_read_b128 v[77:80], v146
	s_waitcnt vmcnt(1) lgkmcnt(1)
	v_mul_f64 v[36:37], v[11:12], v[3:4]
	v_mul_f64 v[3:4], v[9:10], v[3:4]
	v_fma_f64 v[36:37], v[9:10], v[1:2], -v[36:37]
	v_fma_f64 v[38:39], v[11:12], v[1:2], v[3:4]
	ds_read_b128 v[1:4], v64 offset:3328
	ds_read_b128 v[9:12], v64 offset:3744
	s_waitcnt vmcnt(0) lgkmcnt(1)
	v_mul_f64 v[40:41], v[3:4], v[7:8]
	v_add_f64 v[166:167], v[32:33], v[36:37]
	v_add_f64 v[172:173], v[34:35], v[38:39]
	v_fma_f64 v[40:41], v[1:2], v[5:6], -v[40:41]
	v_mul_f64 v[1:2], v[1:2], v[7:8]
	v_add_f64 v[160:161], v[28:29], -v[40:41]
	v_fma_f64 v[42:43], v[3:4], v[5:6], v[1:2]
	s_clause 0x1
	global_load_dwordx4 v[1:4], v0, s[12:13] offset:336
	global_load_dwordx4 v[5:8], v0, s[12:13] offset:352
	v_mul_f64 v[162:163], v[160:161], s[22:23]
	v_add_f64 v[156:157], v[30:31], -v[42:43]
	v_mul_f64 v[158:159], v[156:157], s[22:23]
	s_waitcnt vmcnt(1) lgkmcnt(0)
	v_mul_f64 v[44:45], v[11:12], v[3:4]
	v_mul_f64 v[3:4], v[9:10], v[3:4]
	v_fma_f64 v[44:45], v[9:10], v[1:2], -v[44:45]
	v_fma_f64 v[46:47], v[11:12], v[1:2], v[3:4]
	ds_read_b128 v[1:4], v64 offset:4160
	ds_read_b128 v[9:12], v64 offset:4576
	s_waitcnt vmcnt(0) lgkmcnt(1)
	v_mul_f64 v[48:49], v[3:4], v[7:8]
	v_add_f64 v[139:140], v[24:25], -v[44:45]
	v_add_f64 v[137:138], v[26:27], -v[46:47]
	v_fma_f64 v[48:49], v[1:2], v[5:6], -v[48:49]
	v_mul_f64 v[1:2], v[1:2], v[7:8]
	v_mul_f64 v[152:153], v[137:138], s[18:19]
	;; [unrolled: 1-line block ×3, first 2 shown]
	v_fma_f64 v[50:51], v[3:4], v[5:6], v[1:2]
	s_clause 0x1
	global_load_dwordx4 v[1:4], v0, s[12:13] offset:368
	global_load_dwordx4 v[5:8], v0, s[12:13] offset:384
	s_waitcnt vmcnt(0) lgkmcnt(0)
	s_barrier
	buffer_gl0_inv
	v_mul_f64 v[52:53], v[11:12], v[3:4]
	v_mul_f64 v[3:4], v[9:10], v[3:4]
	v_fma_f64 v[52:53], v[9:10], v[1:2], -v[52:53]
	v_fma_f64 v[54:55], v[11:12], v[1:2], v[3:4]
	v_mul_f64 v[0:1], v[73:74], v[7:8]
	v_fma_f64 v[69:70], v[71:72], v[5:6], -v[0:1]
	v_mul_f64 v[0:1], v[71:72], v[7:8]
	v_fma_f64 v[71:72], v[73:74], v[5:6], v[0:1]
	v_add_f64 v[73:74], v[13:14], v[69:70]
	v_add_f64 v[0:1], v[75:76], -v[71:72]
	v_add_f64 v[99:100], v[75:76], v[71:72]
	v_add_f64 v[75:76], v[79:80], v[75:76]
	v_mul_f64 v[2:3], v[0:1], s[20:21]
	v_mul_f64 v[4:5], v[0:1], s[26:27]
	;; [unrolled: 1-line block ×6, first 2 shown]
	v_fma_f64 v[81:82], v[73:74], s[14:15], -v[2:3]
	v_fma_f64 v[2:3], v[73:74], s[14:15], v[2:3]
	v_fma_f64 v[83:84], v[73:74], s[6:7], -v[4:5]
	v_fma_f64 v[4:5], v[73:74], s[6:7], v[4:5]
	v_fma_f64 v[91:92], v[73:74], s[16:17], -v[10:11]
	v_fma_f64 v[105:106], v[73:74], s[24:25], -v[0:1]
	v_fma_f64 v[107:108], v[73:74], s[24:25], v[0:1]
	v_add_f64 v[0:1], v[13:14], -v[69:70]
	v_fma_f64 v[93:94], v[73:74], s[16:17], v[10:11]
	v_fma_f64 v[85:86], v[73:74], s[4:5], -v[6:7]
	v_fma_f64 v[6:7], v[73:74], s[4:5], v[6:7]
	v_fma_f64 v[87:88], v[73:74], s[8:9], -v[8:9]
	v_fma_f64 v[89:90], v[73:74], s[8:9], v[8:9]
	v_add_f64 v[133:134], v[77:78], v[81:82]
	v_add_f64 v[81:82], v[16:17], v[52:53]
	;; [unrolled: 1-line block ×3, first 2 shown]
	v_mul_f64 v[10:11], v[0:1], s[26:27]
	v_mul_f64 v[73:74], v[0:1], s[28:29]
	;; [unrolled: 1-line block ×6, first 2 shown]
	v_add_f64 v[123:124], v[77:78], v[85:86]
	v_add_f64 v[119:120], v[77:78], v[6:7]
	s_mov_b32 s21, 0x3fddbe06
	v_fma_f64 v[103:104], v[99:100], s[6:7], v[10:11]
	v_fma_f64 v[111:112], v[99:100], s[4:5], v[73:74]
	v_fma_f64 v[113:114], v[99:100], s[4:5], -v[73:74]
	v_fma_f64 v[125:126], v[99:100], s[16:17], v[97:98]
	v_add_f64 v[73:74], v[77:78], v[13:14]
	v_fma_f64 v[127:128], v[99:100], s[16:17], -v[97:98]
	v_fma_f64 v[101:102], v[99:100], s[14:15], v[8:9]
	v_fma_f64 v[8:9], v[99:100], s[14:15], -v[8:9]
	v_fma_f64 v[109:110], v[99:100], s[6:7], -v[10:11]
	v_fma_f64 v[115:116], v[99:100], s[8:9], v[95:96]
	v_fma_f64 v[95:96], v[99:100], s[8:9], -v[95:96]
	v_fma_f64 v[129:130], v[99:100], s[24:25], v[0:1]
	v_fma_f64 v[131:132], v[99:100], s[24:25], -v[0:1]
	v_add_f64 v[10:11], v[77:78], v[4:5]
	v_add_f64 v[99:100], v[77:78], v[91:92]
	v_add_f64 v[91:92], v[16:17], -v[52:53]
	v_add_f64 v[14:15], v[77:78], v[83:84]
	v_add_f64 v[83:84], v[18:19], v[54:55]
	;; [unrolled: 1-line block ×4, first 2 shown]
	v_add_f64 v[89:90], v[18:19], -v[54:55]
	v_add_f64 v[97:98], v[79:80], v[125:126]
	v_add_f64 v[117:118], v[79:80], v[113:114]
	v_add_f64 v[113:114], v[22:23], -v[50:51]
	v_add_f64 v[135:136], v[79:80], v[101:102]
	v_add_f64 v[121:122], v[79:80], v[111:112]
	;; [unrolled: 1-line block ×9, first 2 shown]
	v_mul_f64 v[127:128], v[91:92], s[26:27]
	v_add_f64 v[8:9], v[79:80], v[109:110]
	v_add_f64 v[109:110], v[79:80], v[115:116]
	;; [unrolled: 1-line block ×3, first 2 shown]
	v_add_f64 v[115:116], v[20:21], -v[48:49]
	v_add_f64 v[85:86], v[79:80], v[129:130]
	v_add_f64 v[79:80], v[79:80], v[131:132]
	;; [unrolled: 1-line block ×4, first 2 shown]
	v_mul_f64 v[125:126], v[89:90], s[26:27]
	v_fma_f64 v[6:7], v[83:84], s[6:7], v[127:128]
	v_add_f64 v[16:17], v[16:17], v[20:21]
	v_add_f64 v[18:19], v[18:19], v[22:23]
	v_fma_f64 v[4:5], v[81:82], s[6:7], -v[125:126]
	v_fma_f64 v[125:126], v[81:82], s[6:7], v[125:126]
	v_add_f64 v[6:7], v[6:7], v[135:136]
	v_mul_f64 v[135:136], v[115:116], s[28:29]
	v_add_f64 v[16:17], v[16:17], v[24:25]
	v_add_f64 v[18:19], v[18:19], v[26:27]
	;; [unrolled: 1-line block ×3, first 2 shown]
	v_mul_f64 v[133:134], v[113:114], s[28:29]
	v_add_f64 v[2:3], v[125:126], v[2:3]
	v_fma_f64 v[125:126], v[83:84], s[6:7], -v[127:128]
	v_add_f64 v[16:17], v[16:17], v[28:29]
	v_add_f64 v[18:19], v[18:19], v[30:31]
	v_fma_f64 v[107:108], v[105:106], s[4:5], -v[133:134]
	v_add_f64 v[0:1], v[125:126], v[0:1]
	v_fma_f64 v[125:126], v[105:106], s[4:5], v[133:134]
	v_add_f64 v[16:17], v[16:17], v[32:33]
	v_add_f64 v[18:19], v[18:19], v[34:35]
	;; [unrolled: 1-line block ×7, first 2 shown]
	v_fma_f64 v[129:130], v[107:108], s[4:5], v[135:136]
	v_fma_f64 v[125:126], v[107:108], s[4:5], -v[135:136]
	v_add_f64 v[16:17], v[16:17], v[40:41]
	v_add_f64 v[18:19], v[18:19], v[42:43]
	;; [unrolled: 1-line block ×7, first 2 shown]
	v_fma_f64 v[131:132], v[129:130], s[8:9], -v[152:153]
	v_fma_f64 v[125:126], v[129:130], s[8:9], v[152:153]
	v_add_f64 v[16:17], v[16:17], v[48:49]
	v_add_f64 v[18:19], v[18:19], v[50:51]
	;; [unrolled: 1-line block ×7, first 2 shown]
	v_fma_f64 v[141:142], v[131:132], s[8:9], v[154:155]
	v_fma_f64 v[125:126], v[131:132], s[8:9], -v[154:155]
	v_add_f64 v[16:17], v[16:17], v[69:70]
	v_add_f64 v[18:19], v[18:19], v[71:72]
	;; [unrolled: 1-line block ×5, first 2 shown]
	v_fma_f64 v[143:144], v[141:142], s[16:17], -v[158:159]
	v_fma_f64 v[125:126], v[141:142], s[16:17], v[158:159]
	v_add_f64 v[4:5], v[143:144], v[4:5]
	v_add_f64 v[143:144], v[30:31], v[42:43]
	;; [unrolled: 1-line block ×3, first 2 shown]
	v_fma_f64 v[164:165], v[143:144], s[16:17], v[162:163]
	v_fma_f64 v[125:126], v[143:144], s[16:17], -v[162:163]
	v_add_f64 v[6:7], v[164:165], v[6:7]
	v_add_f64 v[164:165], v[34:35], -v[38:39]
	v_add_f64 v[125:126], v[125:126], v[0:1]
	v_mul_f64 v[168:169], v[164:165], s[30:31]
	v_fma_f64 v[170:171], v[166:167], s[24:25], -v[168:169]
	v_fma_f64 v[0:1], v[166:167], s[24:25], v[168:169]
	v_add_f64 v[4:5], v[170:171], v[4:5]
	v_add_f64 v[170:171], v[32:33], -v[36:37]
	v_add_f64 v[0:1], v[0:1], v[2:3]
	v_mul_f64 v[174:175], v[170:171], s[30:31]
	v_fma_f64 v[127:128], v[172:173], s[24:25], -v[174:175]
	v_fma_f64 v[176:177], v[172:173], s[24:25], v[174:175]
	v_mul_f64 v[174:175], v[164:165], s[20:21]
	v_add_f64 v[2:3], v[127:128], v[125:126]
	v_mul_f64 v[125:126], v[89:90], s[18:19]
	v_add_f64 v[6:7], v[176:177], v[6:7]
	v_mul_f64 v[176:177], v[170:171], s[20:21]
	v_fma_f64 v[127:128], v[81:82], s[8:9], -v[125:126]
	v_fma_f64 v[125:126], v[81:82], s[8:9], v[125:126]
	v_add_f64 v[14:15], v[127:128], v[14:15]
	v_mul_f64 v[127:128], v[91:92], s[18:19]
	v_add_f64 v[10:11], v[125:126], v[10:11]
	v_fma_f64 v[133:134], v[83:84], s[8:9], v[127:128]
	v_fma_f64 v[125:126], v[83:84], s[8:9], -v[127:128]
	v_fma_f64 v[127:128], v[172:173], s[14:15], -v[176:177]
	v_add_f64 v[12:13], v[133:134], v[12:13]
	v_mul_f64 v[133:134], v[113:114], s[30:31]
	v_add_f64 v[8:9], v[125:126], v[8:9]
	v_fma_f64 v[135:136], v[105:106], s[24:25], -v[133:134]
	v_fma_f64 v[125:126], v[105:106], s[24:25], v[133:134]
	v_add_f64 v[14:15], v[135:136], v[14:15]
	v_mul_f64 v[135:136], v[115:116], s[30:31]
	v_add_f64 v[10:11], v[125:126], v[10:11]
	v_fma_f64 v[152:153], v[107:108], s[24:25], v[135:136]
	v_fma_f64 v[125:126], v[107:108], s[24:25], -v[135:136]
	v_add_f64 v[12:13], v[152:153], v[12:13]
	v_mul_f64 v[152:153], v[137:138], s[36:37]
	v_add_f64 v[8:9], v[125:126], v[8:9]
	v_fma_f64 v[154:155], v[129:130], s[16:17], -v[152:153]
	v_fma_f64 v[125:126], v[129:130], s[16:17], v[152:153]
	v_add_f64 v[14:15], v[154:155], v[14:15]
	v_mul_f64 v[154:155], v[139:140], s[36:37]
	v_add_f64 v[10:11], v[125:126], v[10:11]
	v_fma_f64 v[158:159], v[131:132], s[16:17], v[154:155]
	v_fma_f64 v[125:126], v[131:132], s[16:17], -v[154:155]
	v_add_f64 v[12:13], v[158:159], v[12:13]
	v_mul_f64 v[158:159], v[156:157], s[34:35]
	v_add_f64 v[8:9], v[125:126], v[8:9]
	v_fma_f64 v[162:163], v[141:142], s[4:5], -v[158:159]
	v_fma_f64 v[125:126], v[141:142], s[4:5], v[158:159]
	v_add_f64 v[14:15], v[162:163], v[14:15]
	v_mul_f64 v[162:163], v[160:161], s[34:35]
	v_add_f64 v[10:11], v[125:126], v[10:11]
	v_fma_f64 v[125:126], v[143:144], s[4:5], -v[162:163]
	v_fma_f64 v[168:169], v[143:144], s[4:5], v[162:163]
	v_add_f64 v[125:126], v[125:126], v[8:9]
	v_fma_f64 v[8:9], v[166:167], s[14:15], v[174:175]
	v_add_f64 v[168:169], v[168:169], v[12:13]
	v_fma_f64 v[12:13], v[166:167], s[14:15], -v[174:175]
	v_mul_f64 v[174:175], v[164:165], s[22:23]
	v_add_f64 v[8:9], v[8:9], v[10:11]
	v_add_f64 v[10:11], v[127:128], v[125:126]
	v_mul_f64 v[125:126], v[89:90], s[30:31]
	v_add_f64 v[12:13], v[12:13], v[14:15]
	v_fma_f64 v[14:15], v[172:173], s[14:15], v[176:177]
	v_mul_f64 v[176:177], v[170:171], s[22:23]
	v_fma_f64 v[127:128], v[81:82], s[24:25], -v[125:126]
	v_fma_f64 v[125:126], v[81:82], s[24:25], v[125:126]
	v_add_f64 v[14:15], v[14:15], v[168:169]
	v_add_f64 v[123:124], v[127:128], v[123:124]
	v_mul_f64 v[127:128], v[91:92], s[30:31]
	v_add_f64 v[119:120], v[125:126], v[119:120]
	s_mov_b32 s31, 0x3fcea1e5
	v_fma_f64 v[133:134], v[83:84], s[24:25], v[127:128]
	v_fma_f64 v[125:126], v[83:84], s[24:25], -v[127:128]
	v_fma_f64 v[127:128], v[172:173], s[16:17], -v[176:177]
	v_add_f64 v[121:122], v[133:134], v[121:122]
	v_mul_f64 v[133:134], v[113:114], s[38:39]
	v_add_f64 v[117:118], v[125:126], v[117:118]
	v_fma_f64 v[135:136], v[105:106], s[8:9], -v[133:134]
	v_fma_f64 v[125:126], v[105:106], s[8:9], v[133:134]
	v_add_f64 v[123:124], v[135:136], v[123:124]
	v_mul_f64 v[135:136], v[115:116], s[38:39]
	v_add_f64 v[119:120], v[125:126], v[119:120]
	v_fma_f64 v[152:153], v[107:108], s[8:9], v[135:136]
	v_fma_f64 v[125:126], v[107:108], s[8:9], -v[135:136]
	v_add_f64 v[121:122], v[152:153], v[121:122]
	v_mul_f64 v[152:153], v[137:138], s[20:21]
	v_add_f64 v[117:118], v[125:126], v[117:118]
	v_fma_f64 v[154:155], v[129:130], s[14:15], -v[152:153]
	v_fma_f64 v[125:126], v[129:130], s[14:15], v[152:153]
	v_add_f64 v[123:124], v[154:155], v[123:124]
	v_mul_f64 v[154:155], v[139:140], s[20:21]
	v_add_f64 v[119:120], v[125:126], v[119:120]
	v_fma_f64 v[158:159], v[131:132], s[14:15], v[154:155]
	v_fma_f64 v[125:126], v[131:132], s[14:15], -v[154:155]
	v_add_f64 v[121:122], v[158:159], v[121:122]
	v_mul_f64 v[158:159], v[156:157], s[26:27]
	v_add_f64 v[117:118], v[125:126], v[117:118]
	v_fma_f64 v[162:163], v[141:142], s[6:7], -v[158:159]
	v_fma_f64 v[125:126], v[141:142], s[6:7], v[158:159]
	v_add_f64 v[123:124], v[162:163], v[123:124]
	v_mul_f64 v[162:163], v[160:161], s[26:27]
	v_add_f64 v[119:120], v[125:126], v[119:120]
	v_fma_f64 v[125:126], v[143:144], s[6:7], -v[162:163]
	v_fma_f64 v[168:169], v[143:144], s[6:7], v[162:163]
	v_add_f64 v[125:126], v[125:126], v[117:118]
	v_fma_f64 v[117:118], v[166:167], s[16:17], v[174:175]
	v_add_f64 v[168:169], v[168:169], v[121:122]
	v_fma_f64 v[121:122], v[166:167], s[16:17], -v[174:175]
	v_add_f64 v[117:118], v[117:118], v[119:120]
	v_add_f64 v[119:120], v[127:128], v[125:126]
	v_mul_f64 v[125:126], v[89:90], s[36:37]
	v_add_f64 v[121:122], v[121:122], v[123:124]
	v_fma_f64 v[123:124], v[172:173], s[16:17], v[176:177]
	v_fma_f64 v[127:128], v[81:82], s[16:17], -v[125:126]
	v_fma_f64 v[125:126], v[81:82], s[16:17], v[125:126]
	v_add_f64 v[123:124], v[123:124], v[168:169]
	v_add_f64 v[111:112], v[127:128], v[111:112]
	v_mul_f64 v[127:128], v[91:92], s[36:37]
	v_add_f64 v[103:104], v[125:126], v[103:104]
	v_fma_f64 v[133:134], v[83:84], s[16:17], v[127:128]
	v_fma_f64 v[125:126], v[83:84], s[16:17], -v[127:128]
	v_add_f64 v[109:110], v[133:134], v[109:110]
	v_mul_f64 v[133:134], v[113:114], s[20:21]
	v_add_f64 v[101:102], v[125:126], v[101:102]
	v_fma_f64 v[135:136], v[105:106], s[14:15], -v[133:134]
	v_fma_f64 v[125:126], v[105:106], s[14:15], v[133:134]
	v_add_f64 v[111:112], v[135:136], v[111:112]
	v_mul_f64 v[135:136], v[115:116], s[20:21]
	v_add_f64 v[103:104], v[125:126], v[103:104]
	v_fma_f64 v[152:153], v[107:108], s[14:15], v[135:136]
	v_fma_f64 v[125:126], v[107:108], s[14:15], -v[135:136]
	v_add_f64 v[109:110], v[152:153], v[109:110]
	v_mul_f64 v[152:153], v[137:138], s[28:29]
	v_add_f64 v[101:102], v[125:126], v[101:102]
	v_fma_f64 v[154:155], v[129:130], s[4:5], -v[152:153]
	v_fma_f64 v[125:126], v[129:130], s[4:5], v[152:153]
	v_add_f64 v[111:112], v[154:155], v[111:112]
	v_mul_f64 v[154:155], v[139:140], s[28:29]
	v_add_f64 v[103:104], v[125:126], v[103:104]
	s_mov_b32 s29, 0x3fea55e2
	s_mov_b32 s28, s26
	v_mul_f64 v[174:175], v[164:165], s[28:29]
	v_mul_f64 v[176:177], v[170:171], s[28:29]
	v_fma_f64 v[158:159], v[131:132], s[4:5], v[154:155]
	v_fma_f64 v[125:126], v[131:132], s[4:5], -v[154:155]
	v_fma_f64 v[127:128], v[172:173], s[6:7], -v[176:177]
	v_add_f64 v[109:110], v[158:159], v[109:110]
	v_mul_f64 v[158:159], v[156:157], s[30:31]
	v_add_f64 v[101:102], v[125:126], v[101:102]
	v_fma_f64 v[162:163], v[141:142], s[24:25], -v[158:159]
	v_fma_f64 v[125:126], v[141:142], s[24:25], v[158:159]
	v_add_f64 v[111:112], v[162:163], v[111:112]
	v_mul_f64 v[162:163], v[160:161], s[30:31]
	v_add_f64 v[103:104], v[125:126], v[103:104]
	v_fma_f64 v[125:126], v[143:144], s[24:25], -v[162:163]
	v_fma_f64 v[168:169], v[143:144], s[24:25], v[162:163]
	v_add_f64 v[125:126], v[125:126], v[101:102]
	v_fma_f64 v[101:102], v[166:167], s[6:7], v[174:175]
	v_add_f64 v[168:169], v[168:169], v[109:110]
	v_fma_f64 v[109:110], v[166:167], s[6:7], -v[174:175]
	v_mul_f64 v[174:175], v[164:165], s[18:19]
	v_add_f64 v[101:102], v[101:102], v[103:104]
	v_add_f64 v[103:104], v[127:128], v[125:126]
	v_mul_f64 v[125:126], v[89:90], s[34:35]
	v_add_f64 v[109:110], v[109:110], v[111:112]
	v_fma_f64 v[111:112], v[172:173], s[6:7], v[176:177]
	v_mul_f64 v[176:177], v[170:171], s[18:19]
	v_mul_f64 v[89:90], v[89:90], s[20:21]
	v_fma_f64 v[127:128], v[81:82], s[4:5], -v[125:126]
	v_fma_f64 v[125:126], v[81:82], s[4:5], v[125:126]
	v_add_f64 v[111:112], v[111:112], v[168:169]
	v_add_f64 v[99:100], v[127:128], v[99:100]
	v_mul_f64 v[127:128], v[91:92], s[34:35]
	v_add_f64 v[95:96], v[125:126], v[95:96]
	v_mul_f64 v[91:92], v[91:92], s[20:21]
	v_fma_f64 v[133:134], v[83:84], s[4:5], v[127:128]
	v_fma_f64 v[125:126], v[83:84], s[4:5], -v[127:128]
	v_fma_f64 v[127:128], v[172:173], s[8:9], -v[176:177]
	v_add_f64 v[97:98], v[133:134], v[97:98]
	v_mul_f64 v[133:134], v[113:114], s[26:27]
	v_add_f64 v[93:94], v[125:126], v[93:94]
	v_mul_f64 v[113:114], v[113:114], s[22:23]
	v_fma_f64 v[135:136], v[105:106], s[6:7], -v[133:134]
	v_fma_f64 v[125:126], v[105:106], s[6:7], v[133:134]
	v_add_f64 v[99:100], v[135:136], v[99:100]
	v_mul_f64 v[135:136], v[115:116], s[26:27]
	v_add_f64 v[95:96], v[125:126], v[95:96]
	v_mul_f64 v[115:116], v[115:116], s[22:23]
	v_fma_f64 v[152:153], v[107:108], s[6:7], v[135:136]
	v_fma_f64 v[125:126], v[107:108], s[6:7], -v[135:136]
	v_add_f64 v[97:98], v[152:153], v[97:98]
	v_mul_f64 v[152:153], v[137:138], s[30:31]
	v_add_f64 v[93:94], v[125:126], v[93:94]
	v_fma_f64 v[154:155], v[129:130], s[24:25], -v[152:153]
	v_fma_f64 v[125:126], v[129:130], s[24:25], v[152:153]
	v_mul_f64 v[152:153], v[170:171], s[34:35]
	v_add_f64 v[99:100], v[154:155], v[99:100]
	v_mul_f64 v[154:155], v[139:140], s[30:31]
	v_add_f64 v[95:96], v[125:126], v[95:96]
	v_fma_f64 v[158:159], v[131:132], s[24:25], v[154:155]
	v_fma_f64 v[125:126], v[131:132], s[24:25], -v[154:155]
	v_add_f64 v[97:98], v[158:159], v[97:98]
	v_mul_f64 v[158:159], v[156:157], s[20:21]
	v_add_f64 v[93:94], v[125:126], v[93:94]
	v_fma_f64 v[162:163], v[141:142], s[14:15], -v[158:159]
	v_fma_f64 v[125:126], v[141:142], s[14:15], v[158:159]
	v_add_f64 v[99:100], v[162:163], v[99:100]
	v_mul_f64 v[162:163], v[160:161], s[20:21]
	v_add_f64 v[95:96], v[125:126], v[95:96]
	v_fma_f64 v[125:126], v[143:144], s[14:15], -v[162:163]
	v_fma_f64 v[168:169], v[143:144], s[14:15], v[162:163]
	v_add_f64 v[125:126], v[125:126], v[93:94]
	v_fma_f64 v[93:94], v[166:167], s[8:9], v[174:175]
	v_add_f64 v[168:169], v[168:169], v[97:98]
	v_fma_f64 v[97:98], v[166:167], s[8:9], -v[174:175]
	v_add_f64 v[93:94], v[93:94], v[95:96]
	v_add_f64 v[95:96], v[127:128], v[125:126]
	v_fma_f64 v[125:126], v[81:82], s[14:15], -v[89:90]
	v_fma_f64 v[81:82], v[81:82], s[14:15], v[89:90]
	v_fma_f64 v[89:90], v[105:106], s[16:17], v[113:114]
	v_add_f64 v[97:98], v[97:98], v[99:100]
	v_fma_f64 v[99:100], v[172:173], s[8:9], v[176:177]
	v_add_f64 v[87:88], v[125:126], v[87:88]
	v_fma_f64 v[125:126], v[83:84], s[14:15], v[91:92]
	v_fma_f64 v[83:84], v[83:84], s[14:15], -v[91:92]
	v_fma_f64 v[91:92], v[107:108], s[16:17], -v[115:116]
	v_add_f64 v[77:78], v[81:82], v[77:78]
	v_add_f64 v[99:100], v[99:100], v[168:169]
	v_add_f64 v[85:86], v[125:126], v[85:86]
	v_fma_f64 v[125:126], v[105:106], s[16:17], -v[113:114]
	v_add_f64 v[79:80], v[83:84], v[79:80]
	v_add_f64 v[77:78], v[89:90], v[77:78]
	;; [unrolled: 1-line block ×3, first 2 shown]
	v_fma_f64 v[125:126], v[107:108], s[16:17], v[115:116]
	v_add_f64 v[79:80], v[91:92], v[79:80]
	v_add_f64 v[85:86], v[125:126], v[85:86]
	v_mul_f64 v[125:126], v[137:138], s[28:29]
	v_fma_f64 v[127:128], v[129:130], s[6:7], -v[125:126]
	v_fma_f64 v[81:82], v[129:130], s[6:7], v[125:126]
	v_add_f64 v[87:88], v[127:128], v[87:88]
	v_mul_f64 v[127:128], v[139:140], s[28:29]
	v_mul_f64 v[139:140], v[164:165], s[34:35]
	v_add_f64 v[77:78], v[81:82], v[77:78]
	v_fma_f64 v[133:134], v[131:132], s[6:7], v[127:128]
	v_fma_f64 v[83:84], v[131:132], s[6:7], -v[127:128]
	v_fma_f64 v[81:82], v[166:167], s[4:5], v[139:140]
	s_mov_b32 s6, exec_lo
	v_add_f64 v[85:86], v[133:134], v[85:86]
	v_mul_f64 v[133:134], v[156:157], s[18:19]
	v_add_f64 v[79:80], v[83:84], v[79:80]
	v_fma_f64 v[83:84], v[172:173], s[4:5], -v[152:153]
	v_fma_f64 v[135:136], v[141:142], s[8:9], -v[133:134]
	v_fma_f64 v[89:90], v[141:142], s[8:9], v[133:134]
	v_add_f64 v[87:88], v[135:136], v[87:88]
	v_mul_f64 v[135:136], v[160:161], s[18:19]
	v_add_f64 v[77:78], v[89:90], v[77:78]
	v_fma_f64 v[137:138], v[143:144], s[8:9], v[135:136]
	v_fma_f64 v[91:92], v[143:144], s[8:9], -v[135:136]
	v_add_f64 v[77:78], v[81:82], v[77:78]
	v_add_f64 v[137:138], v[137:138], v[85:86]
	v_fma_f64 v[85:86], v[166:167], s[4:5], -v[139:140]
	v_add_f64 v[79:80], v[91:92], v[79:80]
	v_add_f64 v[85:86], v[85:86], v[87:88]
	v_fma_f64 v[87:88], v[172:173], s[4:5], v[152:153]
	v_add_f64 v[79:80], v[83:84], v[79:80]
	s_add_u32 s4, s12, 0x1450
	s_addc_u32 s5, s13, 0
	v_add_f64 v[87:88], v[87:88], v[137:138]
	ds_write_b128 v64, v[4:7] offset:416
	ds_write_b128 v64, v[12:15] offset:832
	;; [unrolled: 1-line block ×12, first 2 shown]
	ds_write_b128 v64, v[16:19]
	s_waitcnt lgkmcnt(0)
	s_barrier
	buffer_gl0_inv
	ds_read_b128 v[4:7], v146
	v_sub_nc_u32_e32 v10, v145, v59
                                        ; implicit-def: $vgpr2_vgpr3
                                        ; implicit-def: $vgpr8_vgpr9
	v_cmpx_ne_u32_e32 0, v58
	s_xor_b32 s6, exec_lo, s6
	s_cbranch_execz .LBB0_19
; %bb.18:
	v_mov_b32_e32 v59, 0
	v_lshlrev_b64 v[0:1], 4, v[58:59]
	v_add_co_u32 v0, s1, s4, v0
	v_add_co_ci_u32_e64 v1, s1, s5, v1, s1
	global_load_dwordx4 v[11:14], v[0:1], off
	ds_read_b128 v[0:3], v10 offset:5408
	s_waitcnt lgkmcnt(0)
	v_add_f64 v[8:9], v[4:5], -v[0:1]
	v_add_f64 v[15:16], v[6:7], v[2:3]
	v_add_f64 v[2:3], v[6:7], -v[2:3]
	v_add_f64 v[0:1], v[4:5], v[0:1]
	v_mul_f64 v[6:7], v[8:9], 0.5
	v_mul_f64 v[4:5], v[15:16], 0.5
	;; [unrolled: 1-line block ×3, first 2 shown]
	s_waitcnt vmcnt(0)
	v_mul_f64 v[8:9], v[6:7], v[13:14]
	v_fma_f64 v[15:16], v[4:5], v[13:14], v[2:3]
	v_fma_f64 v[2:3], v[4:5], v[13:14], -v[2:3]
	v_fma_f64 v[17:18], v[0:1], 0.5, v[8:9]
	v_fma_f64 v[0:1], v[0:1], 0.5, -v[8:9]
	v_fma_f64 v[8:9], -v[11:12], v[6:7], v[15:16]
	v_fma_f64 v[2:3], -v[11:12], v[6:7], v[2:3]
	v_fma_f64 v[13:14], v[4:5], v[11:12], v[17:18]
	v_fma_f64 v[0:1], -v[4:5], v[11:12], v[0:1]
                                        ; implicit-def: $vgpr4_vgpr5
	ds_write_b64 v146, v[13:14]
.LBB0_19:
	s_andn2_saveexec_b32 s1, s6
	s_cbranch_execz .LBB0_21
; %bb.20:
	ds_read_b64 v[11:12], v145 offset:2712
	s_waitcnt lgkmcnt(1)
	v_add_f64 v[13:14], v[4:5], v[6:7]
	v_add_f64 v[0:1], v[4:5], -v[6:7]
	v_mov_b32_e32 v8, 0
	v_mov_b32_e32 v9, 0
	;; [unrolled: 1-line block ×4, first 2 shown]
	s_waitcnt lgkmcnt(0)
	v_xor_b32_e32 v12, 0x80000000, v12
	ds_write_b64 v146, v[13:14]
	ds_write_b64 v145, v[11:12] offset:2712
.LBB0_21:
	s_or_b32 exec_lo, exec_lo, s1
	v_mov_b32_e32 v64, 0
	ds_write_b64 v146, v[8:9] offset:8
	ds_write_b128 v10, v[0:3] offset:5408
	s_waitcnt lgkmcnt(2)
	v_lshlrev_b64 v[4:5], 4, v[63:64]
	v_mov_b32_e32 v69, v64
	v_lshlrev_b64 v[11:12], 4, v[68:69]
	v_add_co_u32 v4, s1, s4, v4
	v_add_co_ci_u32_e64 v5, s1, s5, v5, s1
	v_mov_b32_e32 v68, v64
	v_add_co_u32 v11, s1, s4, v11
	global_load_dwordx4 v[4:7], v[4:5], off
	v_add_co_ci_u32_e64 v12, s1, s5, v12, s1
	v_lshlrev_b64 v[8:9], 4, v[67:68]
	v_mov_b32_e32 v67, v64
	global_load_dwordx4 v[11:14], v[11:12], off
	ds_read_b128 v[0:3], v151
	ds_read_b128 v[15:18], v10 offset:4992
	v_add_co_u32 v8, s1, s4, v8
	v_add_co_ci_u32_e64 v9, s1, s5, v9, s1
	global_load_dwordx4 v[19:22], v[8:9], off
	s_waitcnt lgkmcnt(0)
	v_add_f64 v[8:9], v[0:1], -v[15:16]
	v_add_f64 v[23:24], v[2:3], v[17:18]
	v_add_f64 v[2:3], v[2:3], -v[17:18]
	v_add_f64 v[0:1], v[0:1], v[15:16]
	v_mul_f64 v[8:9], v[8:9], 0.5
	v_mul_f64 v[17:18], v[23:24], 0.5
	;; [unrolled: 1-line block ×3, first 2 shown]
	s_waitcnt vmcnt(2)
	v_mul_f64 v[15:16], v[8:9], v[6:7]
	v_fma_f64 v[23:24], v[17:18], v[6:7], v[2:3]
	v_fma_f64 v[6:7], v[17:18], v[6:7], -v[2:3]
	v_fma_f64 v[25:26], v[0:1], 0.5, v[15:16]
	v_fma_f64 v[15:16], v[0:1], 0.5, -v[15:16]
	v_fma_f64 v[2:3], -v[4:5], v[8:9], v[23:24]
	v_fma_f64 v[6:7], -v[4:5], v[8:9], v[6:7]
	v_lshlrev_b64 v[8:9], 4, v[66:67]
	v_mov_b32_e32 v66, v64
	v_add_co_u32 v8, s1, s4, v8
	v_add_co_ci_u32_e64 v9, s1, s5, v9, s1
	v_fma_f64 v[0:1], v[17:18], v[4:5], v[25:26]
	v_fma_f64 v[4:5], -v[17:18], v[4:5], v[15:16]
	ds_write_b128 v151, v[0:3]
	ds_write_b128 v10, v[4:7] offset:4992
	ds_read_b128 v[0:3], v150
	ds_read_b128 v[4:7], v10 offset:4576
	global_load_dwordx4 v[15:18], v[8:9], off
	s_waitcnt lgkmcnt(0)
	v_add_f64 v[8:9], v[0:1], -v[4:5]
	v_add_f64 v[23:24], v[2:3], v[6:7]
	v_add_f64 v[2:3], v[2:3], -v[6:7]
	v_add_f64 v[0:1], v[0:1], v[4:5]
	v_mul_f64 v[6:7], v[8:9], 0.5
	v_mul_f64 v[8:9], v[23:24], 0.5
	;; [unrolled: 1-line block ×3, first 2 shown]
	s_waitcnt vmcnt(2)
	v_mul_f64 v[4:5], v[6:7], v[13:14]
	v_fma_f64 v[23:24], v[8:9], v[13:14], v[2:3]
	v_fma_f64 v[13:14], v[8:9], v[13:14], -v[2:3]
	v_fma_f64 v[25:26], v[0:1], 0.5, v[4:5]
	v_fma_f64 v[4:5], v[0:1], 0.5, -v[4:5]
	v_fma_f64 v[2:3], -v[11:12], v[6:7], v[23:24]
	v_fma_f64 v[6:7], -v[11:12], v[6:7], v[13:14]
	v_fma_f64 v[0:1], v[8:9], v[11:12], v[25:26]
	v_fma_f64 v[4:5], -v[8:9], v[11:12], v[4:5]
	v_lshlrev_b64 v[8:9], 4, v[65:66]
	ds_write_b128 v150, v[0:3]
	ds_write_b128 v10, v[4:7] offset:4576
	v_add_co_u32 v8, s1, s4, v8
	ds_read_b128 v[0:3], v149
	ds_read_b128 v[4:7], v10 offset:4160
	v_add_co_ci_u32_e64 v9, s1, s5, v9, s1
	global_load_dwordx4 v[11:14], v[8:9], off
	s_waitcnt lgkmcnt(0)
	v_add_f64 v[8:9], v[0:1], -v[4:5]
	v_add_f64 v[23:24], v[2:3], v[6:7]
	v_add_f64 v[2:3], v[2:3], -v[6:7]
	v_add_f64 v[0:1], v[0:1], v[4:5]
	v_mul_f64 v[6:7], v[8:9], 0.5
	v_mul_f64 v[8:9], v[23:24], 0.5
	v_mul_f64 v[2:3], v[2:3], 0.5
	s_waitcnt vmcnt(2)
	v_mul_f64 v[4:5], v[6:7], v[21:22]
	v_fma_f64 v[23:24], v[8:9], v[21:22], v[2:3]
	v_fma_f64 v[21:22], v[8:9], v[21:22], -v[2:3]
	v_fma_f64 v[25:26], v[0:1], 0.5, v[4:5]
	v_fma_f64 v[4:5], v[0:1], 0.5, -v[4:5]
	v_fma_f64 v[2:3], -v[19:20], v[6:7], v[23:24]
	v_fma_f64 v[6:7], -v[19:20], v[6:7], v[21:22]
	v_fma_f64 v[0:1], v[8:9], v[19:20], v[25:26]
	v_fma_f64 v[4:5], -v[8:9], v[19:20], v[4:5]
	ds_write_b128 v149, v[0:3]
	ds_write_b128 v10, v[4:7] offset:4160
	ds_read_b128 v[0:3], v148
	ds_read_b128 v[4:7], v10 offset:3744
	s_waitcnt lgkmcnt(0)
	v_add_f64 v[8:9], v[0:1], -v[4:5]
	v_add_f64 v[19:20], v[2:3], v[6:7]
	v_add_f64 v[2:3], v[2:3], -v[6:7]
	v_add_f64 v[0:1], v[0:1], v[4:5]
	v_mul_f64 v[6:7], v[8:9], 0.5
	v_mul_f64 v[8:9], v[19:20], 0.5
	;; [unrolled: 1-line block ×3, first 2 shown]
	s_waitcnt vmcnt(1)
	v_mul_f64 v[4:5], v[6:7], v[17:18]
	v_fma_f64 v[19:20], v[8:9], v[17:18], v[2:3]
	v_fma_f64 v[17:18], v[8:9], v[17:18], -v[2:3]
	v_fma_f64 v[21:22], v[0:1], 0.5, v[4:5]
	v_fma_f64 v[4:5], v[0:1], 0.5, -v[4:5]
	v_fma_f64 v[2:3], -v[15:16], v[6:7], v[19:20]
	v_fma_f64 v[6:7], -v[15:16], v[6:7], v[17:18]
	v_fma_f64 v[0:1], v[8:9], v[15:16], v[21:22]
	v_fma_f64 v[4:5], -v[8:9], v[15:16], v[4:5]
	ds_write_b128 v148, v[0:3]
	ds_write_b128 v10, v[4:7] offset:3744
	ds_read_b128 v[0:3], v147
	ds_read_b128 v[4:7], v10 offset:3328
	s_waitcnt lgkmcnt(0)
	v_add_f64 v[8:9], v[0:1], -v[4:5]
	v_add_f64 v[15:16], v[2:3], v[6:7]
	v_add_f64 v[2:3], v[2:3], -v[6:7]
	v_add_f64 v[0:1], v[0:1], v[4:5]
	v_mul_f64 v[6:7], v[8:9], 0.5
	v_mul_f64 v[8:9], v[15:16], 0.5
	;; [unrolled: 1-line block ×3, first 2 shown]
	s_waitcnt vmcnt(0)
	v_mul_f64 v[4:5], v[6:7], v[13:14]
	v_fma_f64 v[15:16], v[8:9], v[13:14], v[2:3]
	v_fma_f64 v[13:14], v[8:9], v[13:14], -v[2:3]
	v_fma_f64 v[17:18], v[0:1], 0.5, v[4:5]
	v_fma_f64 v[4:5], v[0:1], 0.5, -v[4:5]
	v_fma_f64 v[2:3], -v[11:12], v[6:7], v[15:16]
	v_fma_f64 v[6:7], -v[11:12], v[6:7], v[13:14]
	v_fma_f64 v[0:1], v[8:9], v[11:12], v[17:18]
	v_fma_f64 v[4:5], -v[8:9], v[11:12], v[4:5]
	ds_write_b128 v147, v[0:3]
	ds_write_b128 v10, v[4:7] offset:3328
	s_and_saveexec_b32 s1, s0
	s_cbranch_execz .LBB0_23
; %bb.22:
	v_mov_b32_e32 v63, v64
	v_lshl_add_u32 v17, v62, 4, v145
	v_lshlrev_b64 v[0:1], 4, v[62:63]
	v_add_co_u32 v0, s0, s4, v0
	v_add_co_ci_u32_e64 v1, s0, s5, v1, s0
	global_load_dwordx4 v[0:3], v[0:1], off
	ds_read_b128 v[4:7], v17
	ds_read_b128 v[11:14], v10 offset:2912
	s_waitcnt lgkmcnt(0)
	v_add_f64 v[8:9], v[4:5], -v[11:12]
	v_add_f64 v[15:16], v[6:7], v[13:14]
	v_add_f64 v[6:7], v[6:7], -v[13:14]
	v_add_f64 v[4:5], v[4:5], v[11:12]
	v_mul_f64 v[8:9], v[8:9], 0.5
	v_mul_f64 v[13:14], v[15:16], 0.5
	;; [unrolled: 1-line block ×3, first 2 shown]
	s_waitcnt vmcnt(0)
	v_mul_f64 v[11:12], v[8:9], v[2:3]
	v_fma_f64 v[15:16], v[13:14], v[2:3], v[6:7]
	v_fma_f64 v[2:3], v[13:14], v[2:3], -v[6:7]
	v_fma_f64 v[6:7], v[4:5], 0.5, v[11:12]
	v_fma_f64 v[11:12], v[4:5], 0.5, -v[11:12]
	v_fma_f64 v[4:5], -v[0:1], v[8:9], v[15:16]
	v_fma_f64 v[8:9], -v[0:1], v[8:9], v[2:3]
	v_fma_f64 v[2:3], v[13:14], v[0:1], v[6:7]
	v_fma_f64 v[6:7], -v[13:14], v[0:1], v[11:12]
	ds_write_b128 v17, v[2:5]
	ds_write_b128 v10, v[6:9] offset:2912
.LBB0_23:
	s_or_b32 exec_lo, exec_lo, s1
	s_waitcnt lgkmcnt(0)
	s_barrier
	buffer_gl0_inv
	s_and_saveexec_b32 s0, vcc_lo
	s_cbranch_execz .LBB0_26
; %bb.24:
	v_mul_lo_u32 v3, s3, v60
	v_mul_lo_u32 v4, s2, v61
	v_mad_u64_u32 v[1:2], null, s2, v60, 0
	v_lshl_add_u32 v0, v58, 4, v145
	v_mov_b32_e32 v59, 0
	v_lshlrev_b64 v[11:12], 4, v[56:57]
	v_add_nc_u32_e32 v13, 26, v58
	v_add_nc_u32_e32 v19, 52, v58
	;; [unrolled: 1-line block ×3, first 2 shown]
	v_add3_u32 v2, v2, v4, v3
	ds_read_b128 v[3:6], v0
	ds_read_b128 v[7:10], v0 offset:416
	v_lshlrev_b64 v[15:16], 4, v[58:59]
	v_mov_b32_e32 v14, v59
	v_mov_b32_e32 v20, v59
	v_lshlrev_b64 v[1:2], 4, v[1:2]
	v_mov_b32_e32 v22, v59
	v_add_nc_u32_e32 v27, 0x68, v58
	v_lshlrev_b64 v[25:26], 4, v[13:14]
	v_lshlrev_b64 v[19:20], 4, v[19:20]
	v_mov_b32_e32 v28, v59
	v_add_co_u32 v1, vcc_lo, s10, v1
	v_add_co_ci_u32_e32 v2, vcc_lo, s11, v2, vcc_lo
	v_lshlrev_b64 v[21:22], 4, v[21:22]
	v_add_co_u32 v1, vcc_lo, v1, v11
	v_add_co_ci_u32_e32 v2, vcc_lo, v2, v12, vcc_lo
	v_add_nc_u32_e32 v31, 0x82, v58
	v_add_co_u32 v23, vcc_lo, v1, v15
	v_add_co_ci_u32_e32 v24, vcc_lo, v2, v16, vcc_lo
	ds_read_b128 v[11:14], v0 offset:832
	ds_read_b128 v[15:18], v0 offset:1248
	v_mov_b32_e32 v32, v59
	v_lshlrev_b64 v[27:28], 4, v[27:28]
	s_waitcnt lgkmcnt(3)
	global_store_dwordx4 v[23:24], v[3:6], off
	v_add_co_u32 v23, vcc_lo, v1, v25
	v_add_co_ci_u32_e32 v24, vcc_lo, v2, v26, vcc_lo
	v_add_co_u32 v25, vcc_lo, v1, v19
	v_add_co_ci_u32_e32 v26, vcc_lo, v2, v20, vcc_lo
	v_add_co_u32 v29, vcc_lo, v1, v21
	ds_read_b128 v[3:6], v0 offset:1664
	v_add_co_ci_u32_e32 v30, vcc_lo, v2, v22, vcc_lo
	ds_read_b128 v[19:22], v0 offset:2080
	s_waitcnt lgkmcnt(4)
	global_store_dwordx4 v[23:24], v[7:10], off
	s_waitcnt lgkmcnt(3)
	global_store_dwordx4 v[25:26], v[11:14], off
	;; [unrolled: 2-line block ×3, first 2 shown]
	v_lshlrev_b64 v[7:8], 4, v[31:32]
	v_add_co_u32 v9, vcc_lo, v1, v27
	v_add_co_ci_u32_e32 v10, vcc_lo, v2, v28, vcc_lo
	v_add_nc_u32_e32 v11, 0x9c, v58
	v_add_co_u32 v7, vcc_lo, v1, v7
	v_add_co_ci_u32_e32 v8, vcc_lo, v2, v8, vcc_lo
	v_mov_b32_e32 v12, v59
	v_add_nc_u32_e32 v13, 0xb6, v58
	v_mov_b32_e32 v14, v59
	s_waitcnt lgkmcnt(1)
	global_store_dwordx4 v[9:10], v[3:6], off
	v_add_nc_u32_e32 v25, 0x138, v58
	v_lshlrev_b64 v[15:16], 4, v[11:12]
	s_waitcnt lgkmcnt(0)
	global_store_dwordx4 v[7:8], v[19:22], off
	ds_read_b128 v[3:6], v0 offset:2496
	ds_read_b128 v[7:10], v0 offset:2912
	v_lshlrev_b64 v[17:18], 4, v[13:14]
	ds_read_b128 v[11:14], v0 offset:3328
	v_add_nc_u32_e32 v19, 0xd0, v58
	v_mov_b32_e32 v20, v59
	v_add_co_u32 v15, vcc_lo, v1, v15
	v_add_co_ci_u32_e32 v16, vcc_lo, v2, v16, vcc_lo
	v_lshlrev_b64 v[19:20], 4, v[19:20]
	v_add_co_u32 v17, vcc_lo, v1, v17
	v_add_nc_u32_e32 v21, 0xea, v58
	v_mov_b32_e32 v22, v59
	v_add_co_ci_u32_e32 v18, vcc_lo, v2, v18, vcc_lo
	v_add_co_u32 v19, vcc_lo, v1, v19
	s_waitcnt lgkmcnt(2)
	global_store_dwordx4 v[15:16], v[3:6], off
	s_waitcnt lgkmcnt(1)
	global_store_dwordx4 v[17:18], v[7:10], off
	v_lshlrev_b64 v[7:8], 4, v[21:22]
	v_add_co_ci_u32_e32 v20, vcc_lo, v2, v20, vcc_lo
	v_add_nc_u32_e32 v9, 0x104, v58
	v_mov_b32_e32 v10, v59
	v_add_nc_u32_e32 v15, 0x11e, v58
	s_waitcnt lgkmcnt(0)
	global_store_dwordx4 v[19:20], v[11:14], off
	v_mov_b32_e32 v16, v59
	v_add_co_u32 v19, vcc_lo, v1, v7
	ds_read_b128 v[3:6], v0 offset:3744
	v_add_co_ci_u32_e32 v20, vcc_lo, v2, v8, vcc_lo
	v_lshlrev_b64 v[21:22], 4, v[9:10]
	ds_read_b128 v[7:10], v0 offset:4160
	ds_read_b128 v[11:14], v0 offset:4576
	v_mov_b32_e32 v26, v59
	v_lshlrev_b64 v[23:24], 4, v[15:16]
	ds_read_b128 v[15:18], v0 offset:4992
	v_add_co_u32 v21, vcc_lo, v1, v21
	v_lshlrev_b64 v[25:26], 4, v[25:26]
	v_add_co_ci_u32_e32 v22, vcc_lo, v2, v22, vcc_lo
	v_add_co_u32 v23, vcc_lo, v1, v23
	v_add_co_ci_u32_e32 v24, vcc_lo, v2, v24, vcc_lo
	v_add_co_u32 v25, vcc_lo, v1, v25
	v_add_co_ci_u32_e32 v26, vcc_lo, v2, v26, vcc_lo
	v_cmp_eq_u32_e32 vcc_lo, 25, v58
	s_waitcnt lgkmcnt(3)
	global_store_dwordx4 v[19:20], v[3:6], off
	s_waitcnt lgkmcnt(2)
	global_store_dwordx4 v[21:22], v[7:10], off
	;; [unrolled: 2-line block ×4, first 2 shown]
	s_and_b32 exec_lo, exec_lo, vcc_lo
	s_cbranch_execz .LBB0_26
; %bb.25:
	ds_read_b128 v[3:6], v0 offset:5008
	v_add_co_u32 v0, vcc_lo, 0x1000, v1
	v_add_co_ci_u32_e32 v1, vcc_lo, 0, v2, vcc_lo
	s_waitcnt lgkmcnt(0)
	global_store_dwordx4 v[0:1], v[3:6], off offset:1312
.LBB0_26:
	s_endpgm
	.section	.rodata,"a",@progbits
	.p2align	6, 0x0
	.amdhsa_kernel fft_rtc_fwd_len338_factors_13_2_13_wgs_52_tpt_26_halfLds_dp_op_CI_CI_unitstride_sbrr_R2C_dirReg
		.amdhsa_group_segment_fixed_size 0
		.amdhsa_private_segment_fixed_size 0
		.amdhsa_kernarg_size 104
		.amdhsa_user_sgpr_count 6
		.amdhsa_user_sgpr_private_segment_buffer 1
		.amdhsa_user_sgpr_dispatch_ptr 0
		.amdhsa_user_sgpr_queue_ptr 0
		.amdhsa_user_sgpr_kernarg_segment_ptr 1
		.amdhsa_user_sgpr_dispatch_id 0
		.amdhsa_user_sgpr_flat_scratch_init 0
		.amdhsa_user_sgpr_private_segment_size 0
		.amdhsa_wavefront_size32 1
		.amdhsa_uses_dynamic_stack 0
		.amdhsa_system_sgpr_private_segment_wavefront_offset 0
		.amdhsa_system_sgpr_workgroup_id_x 1
		.amdhsa_system_sgpr_workgroup_id_y 0
		.amdhsa_system_sgpr_workgroup_id_z 0
		.amdhsa_system_sgpr_workgroup_info 0
		.amdhsa_system_vgpr_workitem_id 0
		.amdhsa_next_free_vgpr 189
		.amdhsa_next_free_sgpr 40
		.amdhsa_reserve_vcc 1
		.amdhsa_reserve_flat_scratch 0
		.amdhsa_float_round_mode_32 0
		.amdhsa_float_round_mode_16_64 0
		.amdhsa_float_denorm_mode_32 3
		.amdhsa_float_denorm_mode_16_64 3
		.amdhsa_dx10_clamp 1
		.amdhsa_ieee_mode 1
		.amdhsa_fp16_overflow 0
		.amdhsa_workgroup_processor_mode 1
		.amdhsa_memory_ordered 1
		.amdhsa_forward_progress 0
		.amdhsa_shared_vgpr_count 0
		.amdhsa_exception_fp_ieee_invalid_op 0
		.amdhsa_exception_fp_denorm_src 0
		.amdhsa_exception_fp_ieee_div_zero 0
		.amdhsa_exception_fp_ieee_overflow 0
		.amdhsa_exception_fp_ieee_underflow 0
		.amdhsa_exception_fp_ieee_inexact 0
		.amdhsa_exception_int_div_zero 0
	.end_amdhsa_kernel
	.text
.Lfunc_end0:
	.size	fft_rtc_fwd_len338_factors_13_2_13_wgs_52_tpt_26_halfLds_dp_op_CI_CI_unitstride_sbrr_R2C_dirReg, .Lfunc_end0-fft_rtc_fwd_len338_factors_13_2_13_wgs_52_tpt_26_halfLds_dp_op_CI_CI_unitstride_sbrr_R2C_dirReg
                                        ; -- End function
	.section	.AMDGPU.csdata,"",@progbits
; Kernel info:
; codeLenInByte = 13616
; NumSgprs: 42
; NumVgprs: 189
; ScratchSize: 0
; MemoryBound: 0
; FloatMode: 240
; IeeeMode: 1
; LDSByteSize: 0 bytes/workgroup (compile time only)
; SGPRBlocks: 5
; VGPRBlocks: 23
; NumSGPRsForWavesPerEU: 42
; NumVGPRsForWavesPerEU: 189
; Occupancy: 5
; WaveLimiterHint : 1
; COMPUTE_PGM_RSRC2:SCRATCH_EN: 0
; COMPUTE_PGM_RSRC2:USER_SGPR: 6
; COMPUTE_PGM_RSRC2:TRAP_HANDLER: 0
; COMPUTE_PGM_RSRC2:TGID_X_EN: 1
; COMPUTE_PGM_RSRC2:TGID_Y_EN: 0
; COMPUTE_PGM_RSRC2:TGID_Z_EN: 0
; COMPUTE_PGM_RSRC2:TIDIG_COMP_CNT: 0
	.text
	.p2alignl 6, 3214868480
	.fill 48, 4, 3214868480
	.type	__hip_cuid_f86a3d95bb2b1b86,@object ; @__hip_cuid_f86a3d95bb2b1b86
	.section	.bss,"aw",@nobits
	.globl	__hip_cuid_f86a3d95bb2b1b86
__hip_cuid_f86a3d95bb2b1b86:
	.byte	0                               ; 0x0
	.size	__hip_cuid_f86a3d95bb2b1b86, 1

	.ident	"AMD clang version 19.0.0git (https://github.com/RadeonOpenCompute/llvm-project roc-6.4.0 25133 c7fe45cf4b819c5991fe208aaa96edf142730f1d)"
	.section	".note.GNU-stack","",@progbits
	.addrsig
	.addrsig_sym __hip_cuid_f86a3d95bb2b1b86
	.amdgpu_metadata
---
amdhsa.kernels:
  - .args:
      - .actual_access:  read_only
        .address_space:  global
        .offset:         0
        .size:           8
        .value_kind:     global_buffer
      - .offset:         8
        .size:           8
        .value_kind:     by_value
      - .actual_access:  read_only
        .address_space:  global
        .offset:         16
        .size:           8
        .value_kind:     global_buffer
      - .actual_access:  read_only
        .address_space:  global
        .offset:         24
        .size:           8
        .value_kind:     global_buffer
      - .actual_access:  read_only
        .address_space:  global
        .offset:         32
        .size:           8
        .value_kind:     global_buffer
      - .offset:         40
        .size:           8
        .value_kind:     by_value
      - .actual_access:  read_only
        .address_space:  global
        .offset:         48
        .size:           8
        .value_kind:     global_buffer
      - .actual_access:  read_only
        .address_space:  global
        .offset:         56
        .size:           8
        .value_kind:     global_buffer
      - .offset:         64
        .size:           4
        .value_kind:     by_value
      - .actual_access:  read_only
        .address_space:  global
        .offset:         72
        .size:           8
        .value_kind:     global_buffer
      - .actual_access:  read_only
        .address_space:  global
        .offset:         80
        .size:           8
        .value_kind:     global_buffer
      - .actual_access:  read_only
        .address_space:  global
        .offset:         88
        .size:           8
        .value_kind:     global_buffer
      - .actual_access:  write_only
        .address_space:  global
        .offset:         96
        .size:           8
        .value_kind:     global_buffer
    .group_segment_fixed_size: 0
    .kernarg_segment_align: 8
    .kernarg_segment_size: 104
    .language:       OpenCL C
    .language_version:
      - 2
      - 0
    .max_flat_workgroup_size: 52
    .name:           fft_rtc_fwd_len338_factors_13_2_13_wgs_52_tpt_26_halfLds_dp_op_CI_CI_unitstride_sbrr_R2C_dirReg
    .private_segment_fixed_size: 0
    .sgpr_count:     42
    .sgpr_spill_count: 0
    .symbol:         fft_rtc_fwd_len338_factors_13_2_13_wgs_52_tpt_26_halfLds_dp_op_CI_CI_unitstride_sbrr_R2C_dirReg.kd
    .uniform_work_group_size: 1
    .uses_dynamic_stack: false
    .vgpr_count:     189
    .vgpr_spill_count: 0
    .wavefront_size: 32
    .workgroup_processor_mode: 1
amdhsa.target:   amdgcn-amd-amdhsa--gfx1030
amdhsa.version:
  - 1
  - 2
...

	.end_amdgpu_metadata
